;; amdgpu-corpus repo=ROCm/rocFFT kind=compiled arch=gfx1030 opt=O3
	.text
	.amdgcn_target "amdgcn-amd-amdhsa--gfx1030"
	.amdhsa_code_object_version 6
	.protected	bluestein_single_back_len1875_dim1_sp_op_CI_CI ; -- Begin function bluestein_single_back_len1875_dim1_sp_op_CI_CI
	.globl	bluestein_single_back_len1875_dim1_sp_op_CI_CI
	.p2align	8
	.type	bluestein_single_back_len1875_dim1_sp_op_CI_CI,@function
bluestein_single_back_len1875_dim1_sp_op_CI_CI: ; @bluestein_single_back_len1875_dim1_sp_op_CI_CI
; %bb.0:
	s_load_dwordx4 s[16:19], s[4:5], 0x28
	v_mul_u32_u24_e32 v1, 0x20d, v0
	v_mov_b32_e32 v115, 0
	s_mov_b32 s0, exec_lo
	v_lshrrev_b32_e32 v27, 16, v1
	v_lshl_add_u32 v114, s6, 1, v27
	s_waitcnt lgkmcnt(0)
	v_cmpx_gt_u64_e64 s[16:17], v[114:115]
	s_cbranch_execz .LBB0_2
; %bb.1:
	s_clause 0x1
	s_load_dwordx4 s[0:3], s[4:5], 0x18
	s_load_dwordx4 s[8:11], s[4:5], 0x0
	v_mul_lo_u16 v1, 0x7d, v27
	v_sub_nc_u16 v26, v0, v1
	v_and_b32_e32 v145, 0xffff, v26
	v_lshlrev_b32_e32 v28, 3, v145
	v_add_co_u32 v65, null, 0xfa, v145
	s_waitcnt lgkmcnt(0)
	s_load_dwordx4 s[12:15], s[0:1], 0x0
	s_clause 0x2
	global_load_dwordx2 v[139:140], v28, s[8:9]
	global_load_dwordx2 v[127:128], v28, s[8:9] offset:1000
	global_load_dwordx2 v[112:113], v28, s[8:9] offset:2000
	v_add_co_u32 v84, s0, s8, v28
	v_add_co_ci_u32_e64 v85, null, s9, 0, s0
	v_add_co_u32 v66, null, 0x7d, v145
	s_waitcnt lgkmcnt(0)
	v_mad_u64_u32 v[0:1], null, s14, v114, 0
	v_mad_u64_u32 v[2:3], null, s12, v145, 0
	s_mul_i32 s0, s13, 0xbb8
	s_mul_hi_u32 s1, s12, 0xbb8
	s_mul_i32 s6, s12, 0xbb8
	s_add_i32 s1, s1, s0
	s_mul_i32 s0, s13, 0xffffd508
	v_mad_u64_u32 v[4:5], null, s15, v114, v[1:2]
	s_sub_i32 s0, s0, s12
	v_mad_u64_u32 v[5:6], null, s13, v145, v[3:4]
	v_mov_b32_e32 v1, v4
	v_add_co_u32 v6, vcc_lo, 0x800, v84
	v_add_co_ci_u32_e32 v7, vcc_lo, 0, v85, vcc_lo
	v_lshlrev_b64 v[0:1], 3, v[0:1]
	v_mov_b32_e32 v3, v5
	global_load_dwordx2 v[141:142], v[6:7], off offset:952
	v_lshlrev_b64 v[2:3], 3, v[2:3]
	v_add_co_u32 v0, vcc_lo, s18, v0
	v_add_co_ci_u32_e32 v1, vcc_lo, s19, v1, vcc_lo
	v_add_co_u32 v0, vcc_lo, v0, v2
	v_add_co_ci_u32_e32 v1, vcc_lo, v1, v3, vcc_lo
	;; [unrolled: 2-line block ×10, first 2 shown]
	v_mad_u64_u32 v[24:25], null, 0xffffd508, s12, v[20:21]
	s_clause 0x2
	global_load_dwordx2 v[137:138], v[14:15], off offset:1904
	global_load_dwordx2 v[135:136], v[16:17], off offset:808
	;; [unrolled: 1-line block ×3, first 2 shown]
	s_clause 0x4
	global_load_dwordx2 v[4:5], v[0:1], off
	global_load_dwordx2 v[10:11], v[2:3], off
	;; [unrolled: 1-line block ×5, first 2 shown]
	v_add_nc_u32_e32 v25, s0, v25
	v_add_co_u32 v31, vcc_lo, v24, s6
	v_add_co_ci_u32_e32 v32, vcc_lo, s1, v25, vcc_lo
	v_add_co_u32 v18, vcc_lo, v31, s6
	global_load_dwordx2 v[2:3], v[24:25], off
	v_add_co_ci_u32_e32 v19, vcc_lo, s1, v32, vcc_lo
	v_add_co_u32 v20, vcc_lo, v18, s6
	s_clause 0x1
	global_load_dwordx2 v[131:132], v[6:7], off offset:1952
	global_load_dwordx2 v[125:126], v[16:17], off offset:1808
	v_add_co_ci_u32_e32 v21, vcc_lo, s1, v19, vcc_lo
	v_add_co_u32 v24, vcc_lo, v20, s6
	v_add_co_ci_u32_e32 v25, vcc_lo, s1, v21, vcc_lo
	v_add_co_u32 v33, vcc_lo, 0x3000, v84
	v_add_co_ci_u32_e32 v34, vcc_lo, 0, v85, vcc_lo
	v_mad_u64_u32 v[16:17], null, 0xffffd508, s12, v[24:25]
	global_load_dwordx2 v[123:124], v[33:34], off offset:712
	global_load_dwordx2 v[6:7], v[31:32], off
	global_load_dwordx2 v[115:116], v[14:15], off offset:904
	global_load_dwordx2 v[14:15], v[18:19], off
	s_clause 0x1
	global_load_dwordx2 v[129:130], v[22:23], off offset:856
	global_load_dwordx2 v[117:118], v[22:23], off offset:1856
	global_load_dwordx2 v[22:23], v[20:21], off
	global_load_dwordx2 v[20:21], v[24:25], off
	v_add_nc_u32_e32 v17, s0, v17
	v_add_co_u32 v18, vcc_lo, v16, s6
	v_add_co_ci_u32_e32 v19, vcc_lo, s1, v17, vcc_lo
	v_add_co_u32 v24, vcc_lo, v18, s6
	global_load_dwordx2 v[16:17], v[16:17], off
	v_add_co_ci_u32_e32 v25, vcc_lo, s1, v19, vcc_lo
	v_add_co_u32 v31, vcc_lo, v24, s6
	global_load_dwordx2 v[18:19], v[18:19], off
	;; [unrolled: 3-line block ×3, first 2 shown]
	v_add_co_ci_u32_e32 v36, vcc_lo, s1, v32, vcc_lo
	global_load_dwordx2 v[119:120], v[29:30], off offset:760
	global_load_dwordx2 v[30:31], v[31:32], off
	global_load_dwordx2 v[121:122], v[33:34], off offset:1712
	global_load_dwordx2 v[33:34], v[35:36], off
	v_and_b32_e32 v29, 1, v27
	v_mov_b32_e32 v35, 0xcccd
	v_mul_lo_u16 v36, v26, 5
	v_and_b32_e32 v32, 0xff, v26
	s_load_dwordx4 s[0:3], s[2:3], 0x0
	v_cmp_eq_u32_e32 vcc_lo, 1, v29
	v_mul_u32_u24_sdwa v41, v65, v35 dst_sel:DWORD dst_unused:UNUSED_PAD src0_sel:WORD_0 src1_sel:DWORD
	v_and_b32_e32 v29, 0xffff, v36
	v_mul_lo_u16 v36, 0xcd, v32
	v_mov_b32_e32 v27, 5
	v_cndmask_b32_e64 v64, 0, 0x3a98, vcc_lo
	v_mul_lo_u16 v32, v32, 41
	v_add_nc_u32_e32 v146, v64, v28
	v_lshrrev_b16 v28, 10, v36
	v_lshl_add_u32 v92, v29, 3, v64
	v_and_b32_e32 v29, 0xff, v66
	v_add_nc_u32_e32 v148, 0xc00, v146
	v_add_nc_u32_e32 v152, 0x400, v146
	;; [unrolled: 1-line block ×3, first 2 shown]
	v_mul_lo_u16 v45, 0xcd, v29
	v_add_nc_u32_e32 v151, 0x1400, v146
	v_add_nc_u32_e32 v147, 0x2400, v146
	;; [unrolled: 1-line block ×5, first 2 shown]
	v_mul_lo_u16 v44, v28, 5
	v_mul_lo_u16 v29, v29, 41
	s_waitcnt vmcnt(22)
	v_mul_f32_e32 v35, v5, v140
	s_waitcnt vmcnt(21)
	v_mul_f32_e32 v37, v11, v142
	v_mul_f32_e32 v38, v10, v142
	;; [unrolled: 1-line block ×3, first 2 shown]
	s_waitcnt vmcnt(20)
	v_mul_f32_e32 v39, v13, v138
	v_fmac_f32_e32 v35, v4, v139
	v_fmac_f32_e32 v37, v10, v141
	s_waitcnt vmcnt(18)
	v_mul_f32_e32 v4, v9, v136
	v_mul_f32_e32 v10, v8, v136
	v_fma_f32 v38, v11, v141, -v38
	v_fma_f32 v36, v5, v139, -v36
	v_mul_f32_e32 v40, v12, v138
	v_fmac_f32_e32 v4, v8, v135
	v_fma_f32 v5, v9, v135, -v10
	s_waitcnt vmcnt(17)
	v_mul_f32_e32 v11, v2, v128
	v_mul_f32_e32 v8, v1, v134
	;; [unrolled: 1-line block ×4, first 2 shown]
	v_fmac_f32_e32 v39, v12, v137
	v_fma_f32 v11, v3, v127, -v11
	v_fmac_f32_e32 v8, v0, v133
	v_fma_f32 v9, v1, v133, -v9
	v_fma_f32 v40, v13, v137, -v40
	v_fmac_f32_e32 v10, v2, v127
	ds_write_b64 v146, v[37:38] offset:3000
	ds_write_b64 v146, v[39:40] offset:6000
	;; [unrolled: 1-line block ×4, first 2 shown]
	s_waitcnt vmcnt(13)
	v_mul_f32_e32 v0, v7, v132
	v_mul_f32_e32 v1, v6, v132
	ds_write2_b64 v146, v[35:36], v[10:11] offset1:125
	s_waitcnt vmcnt(10)
	v_mul_f32_e32 v3, v14, v130
	v_mul_f32_e32 v2, v15, v130
	v_fmac_f32_e32 v0, v6, v131
	v_fma_f32 v1, v7, v131, -v1
	s_waitcnt vmcnt(8)
	v_mul_f32_e32 v4, v23, v126
	v_fma_f32 v3, v15, v129, -v3
	v_fmac_f32_e32 v2, v14, v129
	s_waitcnt vmcnt(7)
	v_mul_f32_e32 v6, v21, v124
	v_mul_f32_e32 v7, v20, v124
	;; [unrolled: 1-line block ×3, first 2 shown]
	v_fmac_f32_e32 v4, v22, v125
	v_fmac_f32_e32 v6, v20, v123
	v_fma_f32 v7, v21, v123, -v7
	v_mul_u32_u24_e32 v20, 5, v66
	v_mul_u32_u24_e32 v21, 5, v65
	s_waitcnt vmcnt(6)
	v_mul_f32_e32 v8, v17, v113
	v_mul_f32_e32 v9, v16, v113
	v_fma_f32 v5, v23, v125, -v5
	v_lshl_add_u32 v94, v20, 3, v64
	v_lshl_add_u32 v93, v21, 3, v64
	s_waitcnt vmcnt(5)
	v_mul_f32_e32 v10, v19, v116
	v_mul_f32_e32 v11, v18, v116
	v_fmac_f32_e32 v8, v16, v112
	v_fma_f32 v9, v17, v112, -v9
	s_waitcnt vmcnt(4)
	v_mul_f32_e32 v12, v25, v118
	s_waitcnt vmcnt(2)
	v_mul_f32_e32 v15, v30, v120
	v_mul_f32_e32 v13, v24, v118
	;; [unrolled: 1-line block ×3, first 2 shown]
	s_waitcnt vmcnt(0)
	v_mul_f32_e32 v16, v34, v122
	v_mul_f32_e32 v17, v33, v122
	v_fma_f32 v15, v31, v119, -v15
	v_lshrrev_b16 v31, 10, v45
	v_fmac_f32_e32 v10, v18, v115
	v_fma_f32 v11, v19, v115, -v11
	v_fmac_f32_e32 v12, v24, v117
	v_fma_f32 v13, v25, v117, -v13
	v_mul_lo_u16 v22, v31, 5
	v_fmac_f32_e32 v14, v30, v119
	v_fmac_f32_e32 v16, v33, v121
	v_fma_f32 v17, v34, v121, -v17
	ds_write_b64 v146, v[8:9] offset:2000
	ds_write2_b64 v148, v[0:1], v[10:11] offset0:116 offset1:241
	ds_write2_b64 v42, v[2:3], v[12:13] offset0:107 offset1:232
	;; [unrolled: 1-line block ×4, first 2 shown]
	s_waitcnt lgkmcnt(0)
	s_barrier
	buffer_gl0_inv
	ds_read2_b64 v[0:3], v146 offset1:125
	ds_read2_b64 v[4:7], v152 offset0:122 offset1:247
	ds_read2_b64 v[8:11], v151 offset0:110 offset1:235
	;; [unrolled: 1-line block ×4, first 2 shown]
	v_sub_nc_u16 v24, v66, v22
	ds_read2_b64 v[20:23], v148 offset0:116 offset1:241
	ds_read2_b64 v[33:36], v147 offset0:98 offset1:223
	ds_read_b64 v[37:38], v146 offset:14000
	v_lshrrev_b32_e32 v25, 18, v41
	v_sub_nc_u16 v30, v26, v44
	s_waitcnt lgkmcnt(0)
	s_barrier
	buffer_gl0_inv
	v_mul_lo_u16 v39, v25, 5
	v_lshlrev_b32_sdwa v40, v27, v30 dst_sel:DWORD dst_unused:UNUSED_PAD src0_sel:DWORD src1_sel:BYTE_0
	v_add_f32_e32 v41, v0, v6
	v_sub_f32_e32 v45, v6, v8
	v_add_f32_e32 v42, v8, v14
	v_add_f32_e32 v47, v6, v16
	v_sub_f32_e32 v48, v8, v6
	v_add_f32_e32 v51, v9, v15
	v_sub_f32_e32 v52, v6, v16
	v_add_f32_e32 v6, v2, v20
	v_add_f32_e32 v50, v1, v7
	;; [unrolled: 1-line block ×3, first 2 shown]
	v_sub_f32_e32 v54, v7, v9
	v_sub_f32_e32 v55, v17, v15
	v_add_f32_e32 v57, v10, v33
	v_sub_f32_e32 v58, v21, v19
	v_sub_f32_e32 v60, v20, v10
	v_add_f32_e32 v61, v20, v18
	v_sub_f32_e32 v62, v10, v20
	v_add_f32_e32 v63, v3, v21
	v_add_f32_e32 v67, v11, v34
	v_sub_f32_e32 v68, v20, v18
	v_sub_f32_e32 v20, v21, v11
	v_add_f32_e32 v70, v21, v19
	v_sub_f32_e32 v21, v11, v21
	v_add_f32_e32 v71, v4, v22
	;; [unrolled: 2-line block ×3, first 2 shown]
	v_sub_f32_e32 v43, v7, v17
	v_sub_f32_e32 v56, v9, v7
	v_add_f32_e32 v74, v22, v37
	v_add_f32_e32 v76, v5, v23
	;; [unrolled: 1-line block ×5, first 2 shown]
	v_fma_f32 v6, -0.5, v42, v0
	v_fma_f32 v7, -0.5, v51, v1
	v_sub_f32_e32 v44, v9, v15
	v_sub_f32_e32 v53, v8, v14
	v_add_f32_e32 v41, v41, v8
	v_add_f32_e32 v50, v50, v9
	v_fma_f32 v0, -0.5, v47, v0
	v_fma_f32 v1, -0.5, v79, v1
	v_sub_f32_e32 v83, v19, v34
	v_add_f32_e32 v42, v54, v55
	v_fma_f32 v8, -0.5, v57, v2
	v_fma_f32 v9, -0.5, v67, v3
	v_add_f32_e32 v54, v21, v86
	v_add_f32_e32 v21, v71, v12
	v_sub_f32_e32 v46, v16, v14
	v_sub_f32_e32 v49, v14, v16
	;; [unrolled: 1-line block ×14, first 2 shown]
	v_fma_f32 v2, -0.5, v61, v2
	v_fmac_f32_e32 v3, -0.5, v70
	v_fma_f32 v10, -0.5, v87, v4
	v_sub_f32_e32 v88, v13, v36
	v_sub_f32_e32 v95, v12, v35
	v_add_f32_e32 v63, v63, v11
	v_fma_f32 v11, -0.5, v91, v5
	v_fma_f32 v4, -0.5, v74, v4
	v_add_f32_e32 v57, v76, v13
	v_fmac_f32_e32 v5, -0.5, v78
	v_fmamk_f32 v12, v43, 0x3f737871, v6
	v_fmamk_f32 v13, v52, 0xbf737871, v7
	v_sub_f32_e32 v80, v15, v17
	v_add_f32_e32 v41, v41, v14
	v_add_f32_e32 v50, v50, v15
	v_fmamk_f32 v14, v44, 0xbf737871, v0
	v_fmac_f32_e32 v0, 0x3f737871, v44
	v_fmamk_f32 v15, v53, 0x3f737871, v1
	v_fmac_f32_e32 v1, 0xbf737871, v53
	v_fmac_f32_e32 v6, 0xbf737871, v43
	;; [unrolled: 1-line block ×3, first 2 shown]
	v_add_f32_e32 v51, v20, v83
	v_fmamk_f32 v20, v58, 0x3f737871, v8
	v_add_f32_e32 v67, v21, v35
	v_fmamk_f32 v21, v68, 0xbf737871, v9
	v_sub_f32_e32 v89, v37, v35
	v_add_f32_e32 v45, v45, v46
	v_add_f32_e32 v46, v48, v49
	;; [unrolled: 1-line block ×7, first 2 shown]
	v_fmamk_f32 v22, v59, 0xbf737871, v2
	v_fmac_f32_e32 v2, 0x3f737871, v59
	v_fmamk_f32 v23, v69, 0x3f737871, v3
	v_fmac_f32_e32 v3, 0xbf737871, v69
	v_fmamk_f32 v33, v72, 0x3f737871, v10
	v_sub_f32_e32 v90, v35, v37
	v_fmac_f32_e32 v8, 0xbf737871, v58
	v_add_f32_e32 v63, v63, v34
	v_add_f32_e32 v57, v57, v36
	v_fmac_f32_e32 v9, 0x3f737871, v68
	v_fmac_f32_e32 v10, 0xbf737871, v72
	v_fmamk_f32 v35, v88, 0xbf737871, v4
	v_fmac_f32_e32 v4, 0x3f737871, v88
	v_fmamk_f32 v34, v77, 0xbf737871, v11
	;; [unrolled: 2-line block ×3, first 2 shown]
	v_fmac_f32_e32 v5, 0xbf737871, v95
	v_fmac_f32_e32 v12, 0x3f167918, v44
	;; [unrolled: 1-line block ×3, first 2 shown]
	v_add_f32_e32 v47, v56, v80
	v_fmac_f32_e32 v14, 0x3f167918, v43
	v_fmac_f32_e32 v0, 0xbf167918, v43
	;; [unrolled: 1-line block ×8, first 2 shown]
	v_add_f32_e32 v55, v73, v89
	v_fmac_f32_e32 v22, 0x3f167918, v58
	v_fmac_f32_e32 v2, 0xbf167918, v58
	;; [unrolled: 1-line block ×5, first 2 shown]
	v_add_f32_e32 v56, v75, v90
	v_add_f32_e32 v16, v41, v16
	;; [unrolled: 1-line block ×3, first 2 shown]
	v_fmac_f32_e32 v8, 0xbf167918, v59
	v_fmac_f32_e32 v9, 0x3f167918, v69
	v_fmac_f32_e32 v10, 0xbf167918, v88
	v_fmac_f32_e32 v35, 0x3f167918, v72
	v_fmac_f32_e32 v4, 0xbf167918, v72
	v_fmac_f32_e32 v34, 0xbf167918, v95
	v_fmac_f32_e32 v11, 0x3f167918, v95
	v_fmac_f32_e32 v36, 0xbf167918, v77
	v_fmac_f32_e32 v5, 0x3f167918, v77
	v_fmac_f32_e32 v12, 0x3e9e377a, v45
	v_fmac_f32_e32 v13, 0x3e9e377a, v42
	v_fmac_f32_e32 v14, 0x3e9e377a, v46
	v_fmac_f32_e32 v0, 0x3e9e377a, v46
	v_fmac_f32_e32 v15, 0x3e9e377a, v47
	v_fmac_f32_e32 v1, 0x3e9e377a, v47
	v_fmac_f32_e32 v6, 0x3e9e377a, v45
	v_fmac_f32_e32 v7, 0x3e9e377a, v42
	v_add_f32_e32 v18, v62, v18
	v_add_f32_e32 v19, v63, v19
	v_fmac_f32_e32 v20, 0x3e9e377a, v48
	v_fmac_f32_e32 v21, 0x3e9e377a, v51
	;; [unrolled: 1-line block ×7, first 2 shown]
	v_add_f32_e32 v37, v67, v37
	v_add_f32_e32 v38, v57, v38
	v_fmac_f32_e32 v8, 0x3e9e377a, v48
	v_fmac_f32_e32 v9, 0x3e9e377a, v51
	;; [unrolled: 1-line block ×9, first 2 shown]
	ds_write2_b64 v92, v[16:17], v[12:13] offset1:1
	ds_write2_b64 v92, v[14:15], v[0:1] offset0:2 offset1:3
	ds_write_b64 v92, v[6:7] offset:32
	ds_write2_b64 v94, v[18:19], v[20:21] offset1:1
	ds_write2_b64 v94, v[22:23], v[2:3] offset0:2 offset1:3
	ds_write_b64 v94, v[8:9] offset:32
	ds_write2_b64 v93, v[37:38], v[33:34] offset1:1
	ds_write_b64 v93, v[10:11] offset:32
	ds_write2_b64 v93, v[35:36], v[4:5] offset0:2 offset1:3
	v_sub_nc_u16 v33, v65, v39
	v_mov_b32_e32 v9, 3
	v_lshlrev_b32_sdwa v8, v27, v24 dst_sel:DWORD dst_unused:UNUSED_PAD src0_sel:DWORD src1_sel:BYTE_0
	s_waitcnt lgkmcnt(0)
	s_barrier
	v_lshlrev_b16 v10, 2, v33
	buffer_gl0_inv
	s_clause 0x2
	global_load_dwordx4 v[0:3], v40, s[10:11]
	global_load_dwordx4 v[4:7], v8, s[10:11]
	global_load_dwordx4 v[12:15], v40, s[10:11] offset:16
	v_lshlrev_b32_sdwa v9, v9, v10 dst_sel:DWORD dst_unused:UNUSED_PAD src0_sel:DWORD src1_sel:WORD_0
	s_clause 0x2
	global_load_dwordx4 v[20:23], v8, s[10:11] offset:16
	global_load_dwordx4 v[16:19], v9, s[10:11]
	global_load_dwordx4 v[8:11], v9, s[10:11] offset:16
	v_mov_b32_e32 v34, 0x47af
	v_lshrrev_b16 v48, 10, v32
	v_lshrrev_b16 v50, 10, v29
	v_mad_u16 v25, v25, 25, v33
	ds_read2_b64 v[44:47], v148 offset0:116 offset1:241
	v_mul_u32_u24_sdwa v34, v65, v34 dst_sel:DWORD dst_unused:UNUSED_PAD src0_sel:WORD_0 src1_sel:DWORD
	v_mul_lo_u16 v36, v48, 25
	v_mul_lo_u16 v29, v50, 25
	v_and_b32_e32 v54, 0xffff, v25
	ds_read2_b64 v[40:43], v149 offset0:92 offset1:217
	v_lshrrev_b32_e32 v34, 16, v34
	v_sub_nc_u16 v49, v26, v36
	v_sub_nc_u16 v52, v66, v29
	v_lshl_add_u32 v154, v54, 3, v64
	v_lshlrev_b32_e32 v66, 4, v66
	v_sub_nc_u16 v35, v65, v34
	v_lshlrev_b32_sdwa v60, v27, v49 dst_sel:DWORD dst_unused:UNUSED_PAD src0_sel:DWORD src1_sel:BYTE_0
	v_lshlrev_b32_sdwa v61, v27, v52 dst_sel:DWORD dst_unused:UNUSED_PAD src0_sel:DWORD src1_sel:BYTE_0
	v_lshrrev_b16 v32, 1, v35
	v_mov_b32_e32 v35, 25
	v_add_nc_u16 v32, v32, v34
	v_mul_u32_u24_sdwa v28, v28, v35 dst_sel:DWORD dst_unused:UNUSED_PAD src0_sel:WORD_0 src1_sel:DWORD
	v_mul_u32_u24_sdwa v26, v31, v35 dst_sel:DWORD dst_unused:UNUSED_PAD src0_sel:WORD_0 src1_sel:DWORD
	v_lshrrev_b16 v51, 4, v32
	v_add_nc_u32_sdwa v32, v28, v30 dst_sel:DWORD dst_unused:UNUSED_PAD src0_sel:DWORD src1_sel:BYTE_0
	v_add_nc_u32_sdwa v24, v26, v24 dst_sel:DWORD dst_unused:UNUSED_PAD src0_sel:DWORD src1_sel:BYTE_0
	ds_read2_b64 v[28:31], v152 offset0:122 offset1:247
	v_mul_lo_u16 v36, v51, 25
	v_lshl_add_u32 v153, v32, 3, v64
	ds_read2_b64 v[32:35], v151 offset0:110 offset1:235
	v_lshl_add_u32 v155, v24, 3, v64
	ds_read2_b64 v[24:27], v147 offset0:98 offset1:223
	v_sub_nc_u16 v53, v65, v36
	ds_read2_b64 v[36:39], v150 offset0:104 offset1:229
	v_lshlrev_b16 v55, 5, v53
	v_mad_u16 v53, 0x7d, v51, v53
	v_and_b32_e32 v62, 0xffff, v55
	ds_read2_b64 v[54:57], v146 offset1:125
	ds_read_b64 v[58:59], v146 offset:14000
	s_waitcnt vmcnt(0) lgkmcnt(0)
	s_barrier
	buffer_gl0_inv
	v_and_b32_e32 v53, 0xffff, v53
	v_mul_f32_e32 v63, v31, v1
	v_mul_f32_e32 v67, v30, v1
	;; [unrolled: 1-line block ×24, first 2 shown]
	v_fma_f32 v32, v32, v2, -v68
	v_fmac_f32_e32 v69, v33, v2
	v_fmac_f32_e32 v77, v35, v6
	v_fma_f32 v35, v46, v16, -v82
	v_fma_f32 v30, v30, v0, -v63
	v_fmac_f32_e32 v67, v31, v0
	v_fma_f32 v38, v38, v12, -v70
	v_fmac_f32_e32 v71, v39, v12
	v_fma_f32 v33, v34, v6, -v76
	v_fma_f32 v68, v40, v14, -v72
	v_fmac_f32_e32 v73, v41, v14
	v_fma_f32 v34, v44, v4, -v74
	v_fmac_f32_e32 v75, v45, v4
	v_fmac_f32_e32 v83, v47, v16
	v_fma_f32 v72, v42, v22, -v80
	v_fma_f32 v39, v24, v20, -v78
	v_fmac_f32_e32 v79, v25, v20
	v_fmac_f32_e32 v81, v43, v22
	v_fma_f32 v24, v36, v18, -v86
	v_fma_f32 v36, v26, v8, -v88
	;; [unrolled: 1-line block ×3, first 2 shown]
	v_fmac_f32_e32 v87, v37, v18
	v_fmac_f32_e32 v89, v27, v8
	;; [unrolled: 1-line block ×3, first 2 shown]
	v_add_f32_e32 v25, v54, v30
	v_add_f32_e32 v26, v32, v38
	;; [unrolled: 1-line block ×5, first 2 shown]
	v_sub_f32_e32 v63, v67, v73
	v_sub_f32_e32 v27, v30, v32
	;; [unrolled: 1-line block ×3, first 2 shown]
	v_add_f32_e32 v37, v30, v68
	v_sub_f32_e32 v40, v32, v30
	v_sub_f32_e32 v74, v30, v68
	;; [unrolled: 1-line block ×4, first 2 shown]
	v_add_f32_e32 v46, v67, v73
	v_add_f32_e32 v59, v56, v34
	;; [unrolled: 1-line block ×4, first 2 shown]
	v_sub_f32_e32 v44, v73, v71
	v_add_f32_e32 v78, v33, v39
	v_sub_f32_e32 v80, v34, v33
	v_sub_f32_e32 v82, v33, v34
	v_add_f32_e32 v95, v34, v72
	v_sub_f32_e32 v96, v34, v72
	v_add_f32_e32 v34, v77, v79
	v_sub_f32_e32 v98, v75, v77
	v_sub_f32_e32 v99, v77, v75
	;; [unrolled: 1-line block ×3, first 2 shown]
	v_add_f32_e32 v75, v75, v81
	v_add_f32_e32 v105, v24, v36
	;; [unrolled: 1-line block ×3, first 2 shown]
	v_sub_f32_e32 v70, v69, v71
	v_sub_f32_e32 v106, v35, v24
	;; [unrolled: 1-line block ×5, first 2 shown]
	v_add_f32_e32 v35, v87, v89
	v_sub_f32_e32 v156, v83, v87
	v_sub_f32_e32 v157, v87, v83
	;; [unrolled: 1-line block ×3, first 2 shown]
	v_add_f32_e32 v83, v83, v91
	v_add_f32_e32 v161, v25, v32
	;; [unrolled: 1-line block ×4, first 2 shown]
	v_fma_f32 v24, -0.5, v26, v54
	v_fma_f32 v25, -0.5, v43, v55
	v_sub_f32_e32 v76, v32, v38
	v_sub_f32_e32 v97, v77, v79
	v_add_f32_e32 v59, v59, v33
	v_add_f32_e32 v67, v67, v77
	;; [unrolled: 1-line block ×3, first 2 shown]
	v_fma_f32 v26, -0.5, v37, v54
	v_fma_f32 v27, -0.5, v46, v55
	v_add_f32_e32 v37, v104, v87
	v_add_f32_e32 v162, v30, v44
	v_fma_f32 v30, -0.5, v78, v56
	v_fma_f32 v31, -0.5, v34, v57
	v_sub_f32_e32 v42, v38, v68
	v_sub_f32_e32 v47, v71, v73
	v_sub_f32_e32 v86, v33, v39
	v_sub_f32_e32 v144, v87, v89
	v_fma_f32 v56, -0.5, v95, v56
	v_fmac_f32_e32 v57, -0.5, v75
	v_fma_f32 v32, -0.5, v105, v28
	v_fma_f32 v28, -0.5, v111, v28
	;; [unrolled: 1-line block ×3, first 2 shown]
	v_fmac_f32_e32 v29, -0.5, v83
	v_fmamk_f32 v34, v63, 0x3f737871, v24
	v_fmamk_f32 v35, v74, 0xbf737871, v25
	v_sub_f32_e32 v109, v58, v36
	v_sub_f32_e32 v110, v36, v58
	v_add_f32_e32 v54, v59, v39
	v_add_f32_e32 v55, v67, v79
	;; [unrolled: 1-line block ×4, first 2 shown]
	v_fmamk_f32 v36, v70, 0xbf737871, v26
	v_fmac_f32_e32 v26, 0x3f737871, v70
	v_fmamk_f32 v37, v76, 0x3f737871, v27
	v_fmac_f32_e32 v27, 0xbf737871, v76
	v_fmac_f32_e32 v24, 0xbf737871, v63
	;; [unrolled: 1-line block ×3, first 2 shown]
	v_sub_f32_e32 v88, v72, v39
	v_sub_f32_e32 v90, v39, v72
	;; [unrolled: 1-line block ×3, first 2 shown]
	v_add_f32_e32 v46, v161, v38
	v_fmamk_f32 v38, v100, 0x3f737871, v30
	v_fmamk_f32 v39, v96, 0xbf737871, v31
	v_sub_f32_e32 v102, v79, v81
	v_add_f32_e32 v103, v40, v42
	v_add_f32_e32 v163, v45, v47
	;; [unrolled: 1-line block ×3, first 2 shown]
	v_fmamk_f32 v40, v97, 0xbf737871, v56
	v_fmac_f32_e32 v56, 0x3f737871, v97
	v_fmamk_f32 v41, v86, 0x3f737871, v57
	v_fmac_f32_e32 v57, 0xbf737871, v86
	v_fmamk_f32 v44, v144, 0xbf737871, v28
	v_sub_f32_e32 v159, v91, v89
	v_sub_f32_e32 v160, v89, v91
	v_fmac_f32_e32 v30, 0xbf737871, v100
	v_fmac_f32_e32 v31, 0x3f737871, v96
	v_fmamk_f32 v42, v158, 0x3f737871, v32
	v_fmac_f32_e32 v32, 0xbf737871, v158
	v_fmac_f32_e32 v28, 0x3f737871, v144
	v_fmamk_f32 v43, v143, 0xbf737871, v33
	v_fmac_f32_e32 v33, 0x3f737871, v143
	v_fmamk_f32 v45, v108, 0x3f737871, v29
	v_fmac_f32_e32 v29, 0xbf737871, v108
	v_fmac_f32_e32 v34, 0x3f167918, v70
	;; [unrolled: 1-line block ×9, first 2 shown]
	v_add_f32_e32 v80, v80, v88
	v_add_f32_e32 v78, v82, v90
	;; [unrolled: 1-line block ×3, first 2 shown]
	v_fmac_f32_e32 v38, 0x3f167918, v97
	v_fmac_f32_e32 v39, 0xbf167918, v86
	v_add_f32_e32 v75, v99, v102
	v_add_f32_e32 v88, v107, v110
	v_fmac_f32_e32 v40, 0x3f167918, v100
	v_fmac_f32_e32 v56, 0xbf167918, v100
	;; [unrolled: 1-line block ×5, first 2 shown]
	v_add_f32_e32 v87, v106, v109
	v_add_f32_e32 v90, v156, v159
	v_add_f32_e32 v83, v157, v160
	v_add_f32_e32 v46, v46, v68
	v_add_f32_e32 v47, v47, v73
	v_fmac_f32_e32 v30, 0xbf167918, v97
	v_fmac_f32_e32 v31, 0x3f167918, v86
	v_fmac_f32_e32 v42, 0x3f167918, v144
	v_fmac_f32_e32 v32, 0xbf167918, v144
	v_fmac_f32_e32 v28, 0xbf167918, v158
	v_fmac_f32_e32 v43, 0xbf167918, v108
	v_fmac_f32_e32 v33, 0x3f167918, v108
	v_fmac_f32_e32 v45, 0xbf167918, v143
	v_fmac_f32_e32 v29, 0x3f167918, v143
	v_fmac_f32_e32 v34, 0x3e9e377a, v77
	v_fmac_f32_e32 v35, 0x3e9e377a, v162
	v_fmac_f32_e32 v36, 0x3e9e377a, v103
	v_fmac_f32_e32 v26, 0x3e9e377a, v103
	v_fmac_f32_e32 v37, 0x3e9e377a, v163
	v_fmac_f32_e32 v27, 0x3e9e377a, v163
	v_fmac_f32_e32 v24, 0x3e9e377a, v77
	v_fmac_f32_e32 v25, 0x3e9e377a, v162
	v_add_f32_e32 v54, v54, v72
	v_add_f32_e32 v55, v55, v81
	v_fmac_f32_e32 v38, 0x3e9e377a, v80
	v_fmac_f32_e32 v39, 0x3e9e377a, v82
	;; [unrolled: 1-line block ×7, first 2 shown]
	v_add_f32_e32 v58, v59, v58
	v_add_f32_e32 v59, v67, v91
	v_fmac_f32_e32 v30, 0x3e9e377a, v80
	v_fmac_f32_e32 v31, 0x3e9e377a, v82
	;; [unrolled: 1-line block ×9, first 2 shown]
	ds_write2_b64 v153, v[46:47], v[34:35] offset1:5
	ds_write2_b64 v153, v[36:37], v[26:27] offset0:10 offset1:15
	ds_write_b64 v153, v[24:25] offset:160
	ds_write2_b64 v155, v[54:55], v[38:39] offset1:5
	ds_write2_b64 v155, v[40:41], v[56:57] offset0:10 offset1:15
	ds_write_b64 v155, v[30:31] offset:160
	;; [unrolled: 3-line block ×3, first 2 shown]
	v_add_co_u32 v44, s6, s10, v62
	v_add_co_ci_u32_e64 v45, null, s11, 0, s6
	s_waitcnt lgkmcnt(0)
	s_barrier
	buffer_gl0_inv
	s_clause 0x5
	global_load_dwordx4 v[32:35], v61, s[10:11] offset:160
	global_load_dwordx4 v[36:39], v60, s[10:11] offset:160
	;; [unrolled: 1-line block ×4, first 2 shown]
	global_load_dwordx4 v[40:43], v[44:45], off offset:160
	global_load_dwordx4 v[44:47], v[44:45], off offset:176
	v_mov_b32_e32 v54, 0x625
	v_lshl_add_u32 v156, v53, 3, v64
	v_lshlrev_b32_e32 v86, 5, v145
	v_mul_u32_u24_sdwa v54, v65, v54 dst_sel:DWORD dst_unused:UNUSED_PAD src0_sel:WORD_0 src1_sel:DWORD
	v_lshrrev_b32_e32 v54, 16, v54
	v_sub_nc_u16 v55, v65, v54
	v_lshrrev_b16 v55, 1, v55
	v_add_nc_u16 v54, v55, v54
	v_mov_b32_e32 v55, 0x7d
	v_lshrrev_b16 v54, 6, v54
	v_mul_u32_u24_sdwa v48, v48, v55 dst_sel:DWORD dst_unused:UNUSED_PAD src0_sel:WORD_0 src1_sel:DWORD
	v_mul_u32_u24_sdwa v50, v50, v55 dst_sel:DWORD dst_unused:UNUSED_PAD src0_sel:WORD_0 src1_sel:DWORD
	v_mul_lo_u16 v54, 0x7d, v54
	v_add_nc_u32_sdwa v58, v48, v49 dst_sel:DWORD dst_unused:UNUSED_PAD src0_sel:DWORD src1_sel:BYTE_0
	v_add_nc_u32_sdwa v52, v50, v52 dst_sel:DWORD dst_unused:UNUSED_PAD src0_sel:DWORD src1_sel:BYTE_0
	ds_read2_b64 v[48:51], v149 offset0:92 offset1:217
	v_sub_nc_u16 v67, v65, v54
	ds_read2_b64 v[54:57], v151 offset0:110 offset1:235
	v_lshl_add_u32 v158, v58, 3, v64
	ds_read2_b64 v[58:61], v148 offset0:116 offset1:241
	v_lshl_add_u32 v157, v52, 3, v64
	ds_read2_b64 v[68:71], v150 offset0:104 offset1:229
	ds_read2_b64 v[72:75], v147 offset0:98 offset1:223
	;; [unrolled: 1-line block ×3, first 2 shown]
	ds_read2_b64 v[80:83], v146 offset1:125
	ds_read_b64 v[52:53], v146 offset:14000
	v_lshlrev_b16 v62, 5, v67
	s_waitcnt vmcnt(0) lgkmcnt(0)
	s_barrier
	buffer_gl0_inv
	v_lshlrev_b32_e32 v65, 4, v65
	v_and_b32_e32 v87, 0xffff, v62
	v_mul_f32_e32 v88, v57, v35
	v_mul_f32_e32 v62, v55, v39
	;; [unrolled: 1-line block ×24, first 2 shown]
	v_fma_f32 v54, v54, v38, -v62
	v_fmac_f32_e32 v63, v55, v38
	v_fma_f32 v55, v56, v34, -v88
	v_fma_f32 v88, v48, v30, -v90
	v_fmac_f32_e32 v91, v49, v30
	v_fma_f32 v90, v50, v26, -v95
	;; [unrolled: 3-line block ×3, first 2 shown]
	v_fma_f32 v56, v70, v28, -v101
	v_fmac_f32_e32 v102, v71, v28
	v_fmac_f32_e32 v110, v79, v36
	;; [unrolled: 1-line block ×3, first 2 shown]
	v_fma_f32 v51, v78, v36, -v109
	v_fmac_f32_e32 v89, v57, v34
	v_fmac_f32_e32 v100, v61, v40
	v_fma_f32 v57, v72, v24, -v105
	v_fmac_f32_e32 v106, v73, v24
	v_fma_f32 v50, v68, v42, -v103
	;; [unrolled: 2-line block ×4, first 2 shown]
	v_fmac_f32_e32 v143, v53, v46
	v_add_f32_e32 v59, v54, v56
	v_add_f32_e32 v60, v63, v102
	v_sub_f32_e32 v61, v110, v63
	v_add_f32_e32 v69, v81, v110
	v_sub_f32_e32 v95, v110, v91
	v_sub_f32_e32 v72, v63, v110
	v_add_f32_e32 v73, v110, v91
	v_add_f32_e32 v75, v82, v48
	;; [unrolled: 1-line block ×3, first 2 shown]
	v_sub_f32_e32 v103, v48, v55
	v_sub_f32_e32 v109, v55, v48
	;; [unrolled: 1-line block ×3, first 2 shown]
	v_add_f32_e32 v111, v48, v90
	v_add_f32_e32 v48, v76, v49
	v_sub_f32_e32 v52, v51, v54
	v_add_f32_e32 v68, v80, v51
	v_sub_f32_e32 v97, v51, v88
	v_sub_f32_e32 v70, v54, v51
	v_add_f32_e32 v51, v51, v88
	v_sub_f32_e32 v53, v88, v56
	v_add_f32_e32 v105, v55, v57
	v_add_f32_e32 v160, v89, v106
	;; [unrolled: 1-line block ×3, first 2 shown]
	v_sub_f32_e32 v161, v98, v89
	v_sub_f32_e32 v163, v89, v98
	v_sub_f32_e32 v164, v98, v96
	v_add_f32_e32 v98, v98, v96
	v_sub_f32_e32 v99, v63, v102
	v_add_f32_e32 v168, v50, v58
	v_sub_f32_e32 v169, v49, v50
	v_sub_f32_e32 v170, v50, v49
	v_add_f32_e32 v174, v49, v78
	v_sub_f32_e32 v175, v49, v78
	v_add_f32_e32 v177, v104, v108
	v_sub_f32_e32 v178, v100, v104
	v_sub_f32_e32 v179, v104, v100
	;; [unrolled: 1-line block ×3, first 2 shown]
	v_add_f32_e32 v100, v100, v143
	v_add_f32_e32 v63, v69, v63
	;; [unrolled: 1-line block ×5, first 2 shown]
	v_fma_f32 v48, -0.5, v59, v80
	v_fma_f32 v49, -0.5, v60, v81
	v_sub_f32_e32 v101, v54, v56
	v_sub_f32_e32 v74, v102, v91
	;; [unrolled: 1-line block ×3, first 2 shown]
	v_add_f32_e32 v68, v68, v54
	v_fma_f32 v50, -0.5, v51, v80
	v_fma_f32 v51, -0.5, v73, v81
	v_sub_f32_e32 v62, v91, v102
	v_sub_f32_e32 v162, v89, v106
	;; [unrolled: 1-line block ×3, first 2 shown]
	v_add_f32_e32 v89, v167, v104
	v_add_f32_e32 v104, v52, v53
	v_fma_f32 v52, -0.5, v105, v82
	v_fma_f32 v53, -0.5, v160, v83
	v_sub_f32_e32 v107, v55, v57
	v_fma_f32 v82, -0.5, v111, v82
	v_fmac_f32_e32 v83, -0.5, v98
	v_sub_f32_e32 v71, v56, v88
	v_sub_f32_e32 v172, v78, v58
	;; [unrolled: 1-line block ×3, first 2 shown]
	v_fma_f32 v54, -0.5, v168, v76
	v_fma_f32 v76, -0.5, v174, v76
	;; [unrolled: 1-line block ×3, first 2 shown]
	v_fmac_f32_e32 v77, -0.5, v100
	v_add_f32_e32 v79, v79, v58
	v_fmamk_f32 v58, v95, 0x3f737871, v48
	v_fmamk_f32 v59, v97, 0xbf737871, v49
	v_sub_f32_e32 v144, v90, v57
	v_sub_f32_e32 v159, v57, v90
	v_add_f32_e32 v80, v72, v74
	v_add_f32_e32 v72, v68, v56
	;; [unrolled: 1-line block ×3, first 2 shown]
	v_fmamk_f32 v56, v99, 0xbf737871, v50
	v_fmac_f32_e32 v50, 0x3f737871, v99
	v_fmamk_f32 v57, v101, 0x3f737871, v51
	v_fmac_f32_e32 v51, 0xbf737871, v101
	v_fmac_f32_e32 v48, 0xbf737871, v95
	;; [unrolled: 1-line block ×3, first 2 shown]
	v_sub_f32_e32 v165, v96, v106
	v_add_f32_e32 v167, v61, v62
	v_fmamk_f32 v60, v164, 0x3f737871, v52
	v_fmamk_f32 v61, v110, 0xbf737871, v53
	v_sub_f32_e32 v166, v106, v96
	v_add_f32_e32 v73, v63, v102
	v_fmamk_f32 v62, v162, 0xbf737871, v82
	v_fmac_f32_e32 v82, 0x3f737871, v162
	v_fmamk_f32 v63, v107, 0x3f737871, v83
	v_fmac_f32_e32 v83, 0xbf737871, v107
	v_sub_f32_e32 v181, v143, v108
	v_sub_f32_e32 v182, v108, v143
	v_add_f32_e32 v183, v70, v71
	v_fmac_f32_e32 v52, 0xbf737871, v164
	v_fmac_f32_e32 v53, 0x3f737871, v110
	v_fmamk_f32 v68, v180, 0x3f737871, v54
	v_fmac_f32_e32 v54, 0xbf737871, v180
	v_fmamk_f32 v70, v176, 0xbf737871, v76
	v_fmac_f32_e32 v76, 0x3f737871, v176
	v_fmamk_f32 v69, v175, 0xbf737871, v55
	v_fmac_f32_e32 v55, 0x3f737871, v175
	v_fmamk_f32 v71, v171, 0x3f737871, v77
	v_fmac_f32_e32 v77, 0xbf737871, v171
	v_fmac_f32_e32 v58, 0x3f167918, v99
	;; [unrolled: 1-line block ×9, first 2 shown]
	v_add_f32_e32 v81, v103, v144
	v_add_f32_e32 v103, v161, v165
	;; [unrolled: 1-line block ×3, first 2 shown]
	v_fmac_f32_e32 v60, 0x3f167918, v162
	v_fmac_f32_e32 v61, 0xbf167918, v107
	v_add_f32_e32 v105, v109, v159
	v_add_f32_e32 v98, v163, v166
	v_fmac_f32_e32 v62, 0x3f167918, v164
	v_fmac_f32_e32 v82, 0xbf167918, v164
	;; [unrolled: 1-line block ×4, first 2 shown]
	v_add_f32_e32 v109, v169, v172
	v_add_f32_e32 v111, v170, v173
	;; [unrolled: 1-line block ×7, first 2 shown]
	v_fmac_f32_e32 v52, 0xbf167918, v162
	v_fmac_f32_e32 v53, 0x3f167918, v107
	;; [unrolled: 1-line block ×18, first 2 shown]
	v_add_f32_e32 v74, v74, v90
	v_add_f32_e32 v75, v75, v96
	v_fmac_f32_e32 v60, 0x3e9e377a, v81
	v_fmac_f32_e32 v61, 0x3e9e377a, v103
	;; [unrolled: 1-line block ×6, first 2 shown]
	v_add_f32_e32 v78, v79, v78
	v_add_f32_e32 v79, v89, v143
	v_fmac_f32_e32 v52, 0x3e9e377a, v81
	v_fmac_f32_e32 v53, 0x3e9e377a, v103
	;; [unrolled: 1-line block ×10, first 2 shown]
	ds_write2_b64 v158, v[72:73], v[58:59] offset1:25
	ds_write2_b64 v158, v[56:57], v[50:51] offset0:50 offset1:75
	ds_write_b64 v158, v[48:49] offset:800
	ds_write2_b64 v157, v[74:75], v[60:61] offset1:25
	ds_write2_b64 v157, v[62:63], v[82:83] offset0:50 offset1:75
	ds_write_b64 v157, v[52:53] offset:800
	;; [unrolled: 3-line block ×3, first 2 shown]
	v_add_co_u32 v60, s6, s10, v87
	v_add_co_ci_u32_e64 v61, null, s11, 0, s6
	s_waitcnt lgkmcnt(0)
	s_barrier
	buffer_gl0_inv
	s_clause 0x3
	global_load_dwordx4 v[52:55], v86, s[10:11] offset:960
	global_load_dwordx4 v[48:51], v86, s[10:11] offset:976
	global_load_dwordx4 v[56:59], v[60:61], off offset:960
	global_load_dwordx4 v[60:63], v[60:61], off offset:976
	v_lshlrev_b32_e32 v68, 4, v145
	v_add_co_u32 v69, s6, s10, v68
	v_add_co_ci_u32_e64 v70, null, s11, 0, s6
	v_add_nc_u32_e32 v71, 0x1770, v68
	v_add_co_u32 v81, vcc_lo, 0x1000, v69
	v_add_co_u32 v69, s6, s10, v66
	v_add_co_ci_u32_e32 v82, vcc_lo, 0, v70, vcc_lo
	v_add_co_ci_u32_e64 v70, null, s11, 0, s6
	v_add_co_u32 v77, s6, s10, v65
	v_add_co_ci_u32_e64 v78, null, s11, 0, s6
	v_add_co_u32 v108, s6, s10, v71
	v_and_b32_e32 v71, 0xffff, v67
	v_add_co_u32 v90, vcc_lo, 0x1000, v69
	v_add_nc_u32_e32 v107, 0x1f40, v68
	ds_read2_b64 v[65:68], v151 offset0:110 offset1:235
	v_add_co_ci_u32_e32 v91, vcc_lo, 0, v70, vcc_lo
	v_lshl_add_u32 v159, v71, 3, v64
	ds_read2_b64 v[69:72], v149 offset0:92 offset1:217
	ds_read2_b64 v[73:76], v148 offset0:116 offset1:241
	v_add_co_u32 v103, vcc_lo, 0x1000, v77
	v_add_co_ci_u32_e32 v104, vcc_lo, 0, v78, vcc_lo
	ds_read2_b64 v[77:80], v150 offset0:104 offset1:229
	ds_read2_b64 v[86:89], v147 offset0:98 offset1:223
	ds_read2_b64 v[95:98], v146 offset1:125
	ds_read_b64 v[105:106], v146 offset:14000
	ds_read2_b64 v[99:102], v152 offset0:122 offset1:247
	v_add_co_ci_u32_e64 v109, null, s11, 0, s6
	v_add_nc_u32_e32 v161, 0x2c00, v159
	v_add_nc_u32_e32 v162, 0x2400, v159
	s_waitcnt vmcnt(0) lgkmcnt(0)
	s_barrier
	buffer_gl0_inv
	v_mul_f32_e32 v64, v66, v55
	v_mul_f32_e32 v110, v68, v55
	;; [unrolled: 1-line block ×19, first 2 shown]
	v_fma_f32 v180, v65, v54, -v64
	v_fma_f32 v110, v67, v54, -v110
	v_fmac_f32_e32 v111, v68, v54
	v_fma_f32 v160, v71, v50, -v160
	v_fmac_f32_e32 v163, v72, v50
	;; [unrolled: 2-line block ×3, first 2 shown]
	v_fmac_f32_e32 v167, v76, v56
	v_fma_f32 v76, v86, v48, -v172
	v_fmac_f32_e32 v173, v87, v48
	v_mul_f32_e32 v171, v77, v59
	v_mul_f32_e32 v174, v89, v61
	;; [unrolled: 1-line block ×5, first 2 shown]
	v_fmac_f32_e32 v83, v66, v54
	v_fma_f32 v143, v69, v50, -v143
	v_fmac_f32_e32 v144, v70, v50
	v_fma_f32 v70, v75, v56, -v166
	v_fma_f32 v73, v79, v48, -v168
	v_fmac_f32_e32 v169, v80, v48
	v_fma_f32 v71, v77, v58, -v170
	v_fma_f32 v65, v101, v52, -v176
	v_fmac_f32_e32 v177, v102, v52
	v_sub_f32_e32 v74, v110, v64
	v_sub_f32_e32 v75, v76, v160
	v_add_f32_e32 v77, v111, v173
	v_sub_f32_e32 v79, v165, v111
	v_sub_f32_e32 v86, v163, v173
	v_fmac_f32_e32 v171, v78, v58
	v_fma_f32 v78, v88, v60, -v174
	v_fmac_f32_e32 v175, v89, v60
	v_fma_f32 v80, v105, v62, -v178
	v_fmac_f32_e32 v179, v106, v62
	v_sub_f32_e32 v66, v64, v110
	v_sub_f32_e32 v67, v160, v76
	v_add_f32_e32 v68, v110, v76
	v_add_f32_e32 v69, v64, v160
	;; [unrolled: 1-line block ×5, first 2 shown]
	v_sub_f32_e32 v89, v111, v165
	v_sub_f32_e32 v101, v173, v163
	v_add_f32_e32 v102, v180, v73
	v_add_f32_e32 v105, v83, v169
	;; [unrolled: 1-line block ×6, first 2 shown]
	v_sub_f32_e32 v176, v65, v180
	v_sub_f32_e32 v178, v143, v73
	;; [unrolled: 1-line block ×6, first 2 shown]
	v_add_f32_e32 v189, v74, v75
	v_sub_f32_e32 v75, v83, v177
	v_fma_f32 v65, -0.5, v77, v98
	v_sub_f32_e32 v77, v169, v144
	v_add_f32_e32 v177, v79, v86
	v_add_f32_e32 v79, v99, v70
	v_sub_f32_e32 v164, v165, v163
	v_sub_f32_e32 v165, v64, v160
	;; [unrolled: 1-line block ×3, first 2 shown]
	v_add_f32_e32 v186, v66, v67
	v_fma_f32 v64, -0.5, v68, v97
	v_fma_f32 v97, -0.5, v69, v97
	v_sub_f32_e32 v74, v73, v143
	v_fmac_f32_e32 v98, -0.5, v87
	v_add_f32_e32 v190, v89, v101
	v_fma_f32 v66, -0.5, v102, v95
	v_fma_f32 v67, -0.5, v105, v96
	;; [unrolled: 1-line block ×3, first 2 shown]
	v_add_f32_e32 v87, v71, v78
	v_add_f32_e32 v170, v176, v178
	v_sub_f32_e32 v89, v71, v70
	v_sub_f32_e32 v178, v71, v78
	;; [unrolled: 1-line block ×3, first 2 shown]
	v_add_f32_e32 v102, v72, v110
	v_sub_f32_e32 v72, v78, v80
	v_add_f32_e32 v88, v88, v111
	v_add_f32_e32 v79, v79, v71
	v_add_f32_e32 v71, v171, v175
	v_add_f32_e32 v111, v75, v77
	v_add_f32_e32 v75, v167, v179
	v_sub_f32_e32 v168, v110, v76
	v_sub_f32_e32 v182, v144, v169
	v_sub_f32_e32 v185, v83, v169
	v_add_f32_e32 v86, v100, v167
	v_fma_f32 v68, -0.5, v106, v95
	v_add_f32_e32 v95, v172, v180
	v_add_f32_e32 v83, v174, v83
	;; [unrolled: 1-line block ×4, first 2 shown]
	v_sub_f32_e32 v74, v171, v167
	v_add_f32_e32 v174, v89, v72
	v_sub_f32_e32 v72, v167, v171
	v_fma_f32 v71, -0.5, v71, v100
	v_sub_f32_e32 v77, v175, v179
	v_fmac_f32_e32 v100, -0.5, v75
	v_sub_f32_e32 v75, v179, v175
	v_sub_f32_e32 v187, v180, v73
	v_sub_f32_e32 v105, v80, v78
	v_add_f32_e32 v176, v181, v182
	v_sub_f32_e32 v172, v70, v80
	v_fma_f32 v70, -0.5, v87, v99
	v_fma_f32 v99, -0.5, v101, v99
	v_add_f32_e32 v86, v86, v171
	v_sub_f32_e32 v171, v171, v175
	v_sub_f32_e32 v167, v167, v179
	v_add_f32_e32 v180, v74, v77
	v_add_f32_e32 v182, v72, v75
	v_fmamk_f32 v72, v164, 0x3f737871, v64
	v_fmac_f32_e32 v64, 0xbf737871, v164
	v_add_f32_e32 v87, v95, v73
	v_fmamk_f32 v74, v166, 0xbf737871, v97
	v_fmac_f32_e32 v97, 0x3f737871, v166
	v_fmamk_f32 v73, v165, 0xbf737871, v65
	v_fmac_f32_e32 v65, 0x3f737871, v165
	v_fmamk_f32 v75, v168, 0x3f737871, v98
	v_fmac_f32_e32 v98, 0xbf737871, v168
	v_add_f32_e32 v89, v102, v76
	v_fmamk_f32 v76, v183, 0x3f737871, v66
	v_fmamk_f32 v77, v184, 0xbf737871, v67
	v_add_f32_e32 v181, v96, v105
	v_add_f32_e32 v105, v79, v78
	v_fmamk_f32 v78, v185, 0xbf737871, v68
	v_fmac_f32_e32 v68, 0x3f737871, v185
	v_fmamk_f32 v79, v187, 0x3f737871, v69
	v_fmac_f32_e32 v69, 0xbf737871, v187
	v_fmac_f32_e32 v66, 0xbf737871, v183
	;; [unrolled: 1-line block ×3, first 2 shown]
	v_add_f32_e32 v96, v88, v173
	v_fmamk_f32 v88, v171, 0xbf737871, v99
	v_fmac_f32_e32 v99, 0x3f737871, v171
	v_add_f32_e32 v95, v89, v160
	v_fmamk_f32 v101, v167, 0x3f737871, v70
	v_fmac_f32_e32 v70, 0xbf737871, v167
	v_fmamk_f32 v89, v178, 0x3f737871, v100
	v_fmac_f32_e32 v100, 0xbf737871, v178
	;; [unrolled: 2-line block ×3, first 2 shown]
	v_fmac_f32_e32 v64, 0xbf167918, v166
	v_fmac_f32_e32 v97, 0xbf167918, v164
	v_fmac_f32_e32 v65, 0x3f167918, v168
	v_fmac_f32_e32 v98, 0x3f167918, v165
	v_add_f32_e32 v83, v83, v169
	v_fmac_f32_e32 v76, 0x3f167918, v185
	v_fmac_f32_e32 v77, 0xbf167918, v187
	;; [unrolled: 1-line block ×12, first 2 shown]
	v_add_f32_e32 v106, v86, v175
	v_fmac_f32_e32 v88, 0x3f167918, v167
	v_fmac_f32_e32 v99, 0xbf167918, v167
	;; [unrolled: 1-line block ×12, first 2 shown]
	v_add_f32_e32 v86, v87, v143
	v_add_f32_e32 v87, v83, v144
	v_fmac_f32_e32 v76, 0x3e9e377a, v170
	v_fmac_f32_e32 v77, 0x3e9e377a, v176
	v_fmac_f32_e32 v78, 0x3e9e377a, v110
	v_fmac_f32_e32 v68, 0x3e9e377a, v110
	v_fmac_f32_e32 v79, 0x3e9e377a, v111
	v_fmac_f32_e32 v69, 0x3e9e377a, v111
	v_add_f32_e32 v96, v96, v163
	v_fmac_f32_e32 v66, 0x3e9e377a, v170
	v_fmac_f32_e32 v67, 0x3e9e377a, v176
	;; [unrolled: 1-line block ×6, first 2 shown]
	v_add_f32_e32 v105, v105, v80
	v_add_f32_e32 v106, v106, v179
	v_fmac_f32_e32 v88, 0x3e9e377a, v174
	v_fmac_f32_e32 v99, 0x3e9e377a, v174
	;; [unrolled: 1-line block ×8, first 2 shown]
	ds_write2_b64 v150, v[97:98], v[64:65] offset0:104 offset1:229
	ds_write2_b64 v146, v[86:87], v[76:77] offset1:125
	ds_write2_b64 v152, v[78:79], v[68:69] offset0:122 offset1:247
	ds_write2_b64 v148, v[66:67], v[95:96] offset0:116 offset1:241
	;; [unrolled: 1-line block ×5, first 2 shown]
	ds_write_b64 v159, v[70:71] offset:14000
	v_add_co_u32 v76, s6, s10, v107
	v_add_co_u32 v64, vcc_lo, 0x1000, v108
	v_add_co_ci_u32_e64 v77, null, s11, 0, s6
	v_add_co_ci_u32_e32 v65, vcc_lo, 0, v109, vcc_lo
	v_add_co_u32 v76, vcc_lo, 0x1000, v76
	s_waitcnt lgkmcnt(0)
	s_barrier
	buffer_gl0_inv
	s_clause 0x2
	global_load_dwordx4 v[80:83], v[81:82], off offset:864
	global_load_dwordx4 v[72:75], v[90:91], off offset:864
	;; [unrolled: 1-line block ×3, first 2 shown]
	v_add_co_ci_u32_e32 v77, vcc_lo, 0, v77, vcc_lo
	global_load_dwordx4 v[64:67], v[64:65], off offset:864
	v_add_co_u32 v90, vcc_lo, 0x3800, v84
	global_load_dwordx4 v[76:79], v[76:77], off offset:864
	ds_read2_b64 v[86:89], v147 offset0:98 offset1:223
	ds_read2_b64 v[95:98], v151 offset0:110 offset1:235
	;; [unrolled: 1-line block ×5, first 2 shown]
	ds_read2_b64 v[163:166], v146 offset1:125
	ds_read2_b64 v[167:170], v152 offset0:122 offset1:247
	ds_read_b64 v[171:172], v146 offset:14000
	v_add_co_ci_u32_e32 v91, vcc_lo, 0, v85, vcc_lo
	v_add_co_u32 v143, vcc_lo, 0x3a98, v84
	v_add_nc_u32_e32 v160, 0x2800, v146
	v_add_co_ci_u32_e32 v144, vcc_lo, 0, v85, vcc_lo
	s_mov_b32 s6, 0x9cbd821e
	s_mov_b32 s7, 0x3f4179ec
	s_waitcnt vmcnt(4) lgkmcnt(7)
	v_mul_f32_e32 v111, v87, v83
	v_mul_f32_e32 v173, v86, v83
	s_waitcnt vmcnt(3)
	v_mul_f32_e32 v174, v89, v75
	v_mul_f32_e32 v175, v88, v75
	s_waitcnt lgkmcnt(6)
	v_mul_f32_e32 v176, v96, v73
	v_mul_f32_e32 v177, v95, v73
	s_waitcnt vmcnt(2)
	v_mul_f32_e32 v178, v98, v69
	v_mul_f32_e32 v179, v97, v69
	s_waitcnt lgkmcnt(5)
	v_mul_f32_e32 v180, v101, v81
	v_mul_f32_e32 v181, v102, v81
	s_waitcnt lgkmcnt(4)
	v_mul_f32_e32 v182, v104, v71
	v_mul_f32_e32 v183, v103, v71
	s_waitcnt vmcnt(1)
	v_mul_f32_e32 v184, v106, v67
	v_mul_f32_e32 v185, v105, v67
	s_waitcnt lgkmcnt(3)
	v_mul_f32_e32 v186, v108, v65
	v_fma_f32 v86, v86, v82, -v111
	v_fmac_f32_e32 v173, v87, v82
	v_fma_f32 v88, v88, v74, -v174
	v_fmac_f32_e32 v175, v89, v74
	v_mul_f32_e32 v89, v107, v65
	s_waitcnt vmcnt(0)
	v_mul_f32_e32 v87, v110, v77
	v_mul_f32_e32 v111, v109, v77
	s_waitcnt lgkmcnt(0)
	v_mul_f32_e32 v174, v171, v79
	v_fma_f32 v95, v95, v72, -v176
	v_fmac_f32_e32 v177, v96, v72
	v_fma_f32 v96, v97, v68, -v178
	v_fmac_f32_e32 v179, v98, v68
	v_mul_f32_e32 v97, v172, v79
	v_fmac_f32_e32 v180, v102, v80
	v_fma_f32 v98, v101, v80, -v181
	v_fma_f32 v101, v103, v70, -v182
	v_fmac_f32_e32 v183, v104, v70
	v_fma_f32 v103, v105, v66, -v184
	v_fmac_f32_e32 v185, v106, v66
	;; [unrolled: 2-line block ×4, first 2 shown]
	v_fmac_f32_e32 v174, v172, v78
	v_fma_f32 v105, v171, v78, -v97
	v_add_f32_e32 v87, v164, v180
	v_add_f32_e32 v106, v180, v173
	v_add_f32_e32 v97, v163, v98
	v_add_f32_e32 v107, v98, v86
	v_sub_f32_e32 v110, v98, v86
	v_add_f32_e32 v98, v165, v95
	v_add_f32_e32 v108, v166, v177
	v_sub_f32_e32 v171, v177, v175
	v_add_f32_e32 v172, v177, v175
	v_add_f32_e32 v176, v95, v88
	v_sub_f32_e32 v177, v95, v88
	v_add_f32_e32 v178, v96, v101
	v_sub_f32_e32 v182, v96, v101
	v_add_f32_e32 v95, v167, v96
	v_add_f32_e32 v96, v168, v179
	v_sub_f32_e32 v109, v180, v173
	v_add_f32_e32 v180, v179, v183
	v_sub_f32_e32 v181, v179, v183
	v_add_f32_e32 v87, v87, v173
	v_add_f32_e32 v86, v97, v86
	;; [unrolled: 1-line block ×3, first 2 shown]
	v_sub_f32_e32 v184, v89, v185
	v_add_f32_e32 v186, v89, v185
	v_add_f32_e32 v88, v98, v88
	;; [unrolled: 1-line block ×6, first 2 shown]
	v_sub_f32_e32 v183, v111, v174
	v_add_f32_e32 v111, v111, v174
	v_fma_f32 v97, -0.5, v107, v163
	v_fma_f32 v98, -0.5, v106, v164
	v_add_f32_e32 v107, v99, v104
	v_add_f32_e32 v163, v104, v105
	;; [unrolled: 1-line block ×3, first 2 shown]
	v_sub_f32_e32 v175, v102, v103
	v_add_f32_e32 v95, v95, v101
	v_fma_f32 v165, -0.5, v176, v165
	v_fmac_f32_e32 v166, -0.5, v172
	v_fma_f32 v101, -0.5, v178, v167
	v_fma_f32 v102, -0.5, v180, v168
	v_sub_f32_e32 v176, v104, v105
	v_fma_f32 v169, -0.5, v108, v169
	v_fmac_f32_e32 v170, -0.5, v186
	v_add_f32_e32 v105, v107, v105
	v_fma_f32 v99, -0.5, v163, v99
	v_fmac_f32_e32 v100, -0.5, v111
	v_fmamk_f32 v107, v109, 0x3f5db3d7, v97
	v_fmamk_f32 v108, v110, 0xbf5db3d7, v98
	v_fmac_f32_e32 v97, 0xbf5db3d7, v109
	v_fmac_f32_e32 v98, 0x3f5db3d7, v110
	v_fmamk_f32 v109, v171, 0x3f5db3d7, v165
	v_fmac_f32_e32 v165, 0xbf5db3d7, v171
	v_fmamk_f32 v110, v177, 0xbf5db3d7, v166
	;; [unrolled: 2-line block ×4, first 2 shown]
	v_fmac_f32_e32 v102, 0x3f5db3d7, v182
	v_add_f32_e32 v103, v179, v103
	v_add_f32_e32 v104, v173, v185
	;; [unrolled: 1-line block ×3, first 2 shown]
	v_fmamk_f32 v167, v184, 0x3f5db3d7, v169
	v_fmac_f32_e32 v169, 0xbf5db3d7, v184
	v_fmamk_f32 v168, v175, 0xbf5db3d7, v170
	v_fmac_f32_e32 v170, 0x3f5db3d7, v175
	;; [unrolled: 2-line block ×4, first 2 shown]
	ds_write_b64 v146, v[107:108] offset:5000
	ds_write_b64 v146, v[97:98] offset:10000
	ds_write2_b64 v146, v[86:87], v[88:89] offset1:125
	ds_write2_b64 v160, v[165:166], v[101:102] offset0:95 offset1:220
	ds_write2_b64 v151, v[109:110], v[163:164] offset0:110 offset1:235
	;; [unrolled: 1-line block ×3, first 2 shown]
	ds_write_b64 v146, v[169:170] offset:13000
	ds_write_b64 v146, v[105:106] offset:4000
	ds_write2_b64 v150, v[167:168], v[171:172] offset0:104 offset1:229
	ds_write_b64 v146, v[99:100] offset:14000
	v_add_co_u32 v86, vcc_lo, 0x5000, v84
	s_waitcnt lgkmcnt(0)
	s_barrier
	buffer_gl0_inv
	global_load_dwordx2 v[103:104], v[90:91], off offset:664
	v_add_co_ci_u32_e32 v87, vcc_lo, 0, v85, vcc_lo
	v_add_co_u32 v88, vcc_lo, 0x6800, v84
	s_clause 0x1
	global_load_dwordx2 v[105:106], v[143:144], off offset:1000
	global_load_dwordx2 v[107:108], v[86:87], off offset:520
	v_add_co_ci_u32_e32 v89, vcc_lo, 0, v85, vcc_lo
	s_clause 0x1
	global_load_dwordx2 v[109:110], v[86:87], off offset:1520
	global_load_dwordx2 v[163:164], v[88:89], off offset:376
	v_add_co_u32 v86, vcc_lo, 0x4000, v84
	v_add_co_ci_u32_e32 v87, vcc_lo, 0, v85, vcc_lo
	s_clause 0x1
	global_load_dwordx2 v[165:166], v[88:89], off offset:1376
	global_load_dwordx2 v[167:168], v[86:87], off offset:1616
	v_add_co_u32 v86, vcc_lo, 0x4800, v84
	global_load_dwordx2 v[143:144], v[143:144], off offset:2000
	v_add_co_ci_u32_e32 v87, vcc_lo, 0, v85, vcc_lo
	v_add_co_u32 v88, vcc_lo, 0x5800, v84
	v_add_co_ci_u32_e32 v89, vcc_lo, 0, v85, vcc_lo
	s_clause 0x1
	global_load_dwordx2 v[169:170], v[86:87], off offset:568
	global_load_dwordx2 v[171:172], v[86:87], off offset:1568
	v_add_co_u32 v86, vcc_lo, 0x6000, v84
	v_add_co_ci_u32_e32 v87, vcc_lo, 0, v85, vcc_lo
	v_add_co_u32 v84, vcc_lo, 0x7000, v84
	s_clause 0x2
	global_load_dwordx2 v[173:174], v[88:89], off offset:1472
	global_load_dwordx2 v[175:176], v[88:89], off offset:472
	;; [unrolled: 1-line block ×3, first 2 shown]
	v_add_co_ci_u32_e32 v85, vcc_lo, 0, v85, vcc_lo
	s_clause 0x1
	global_load_dwordx2 v[179:180], v[86:87], off offset:1424
	global_load_dwordx2 v[181:182], v[84:85], off offset:328
	ds_read2_b64 v[84:87], v146 offset1:125
	ds_read2_b64 v[88:91], v151 offset0:110 offset1:235
	ds_read2_b64 v[95:98], v149 offset0:92 offset1:217
	;; [unrolled: 1-line block ×3, first 2 shown]
	s_waitcnt vmcnt(14) lgkmcnt(3)
	v_mul_f32_e32 v111, v85, v104
	v_mul_f32_e32 v184, v84, v104
	s_waitcnt vmcnt(13)
	v_mul_f32_e32 v185, v87, v106
	v_fma_f32 v183, v84, v103, -v111
	v_mul_f32_e32 v104, v86, v106
	s_waitcnt vmcnt(12) lgkmcnt(2)
	v_mul_f32_e32 v111, v89, v108
	v_fmac_f32_e32 v184, v85, v103
	v_fma_f32 v103, v86, v105, -v185
	v_mul_f32_e32 v106, v88, v108
	s_waitcnt vmcnt(11)
	v_mul_f32_e32 v185, v91, v110
	v_mul_f32_e32 v108, v90, v110
	v_fmac_f32_e32 v104, v87, v105
	ds_read2_b64 v[84:87], v148 offset0:116 offset1:241
	v_fma_f32 v105, v88, v107, -v111
	s_waitcnt vmcnt(10) lgkmcnt(2)
	v_mul_f32_e32 v111, v96, v164
	v_fmac_f32_e32 v106, v89, v107
	v_fma_f32 v107, v90, v109, -v185
	v_mul_f32_e32 v110, v95, v164
	v_fmac_f32_e32 v108, v91, v109
	ds_read2_b64 v[88:91], v150 offset0:104 offset1:229
	s_waitcnt vmcnt(9)
	v_mul_f32_e32 v185, v98, v166
	v_mul_f32_e32 v164, v97, v166
	v_fma_f32 v109, v95, v163, -v111
	s_waitcnt vmcnt(8) lgkmcnt(2)
	v_mul_f32_e32 v111, v102, v168
	v_mul_f32_e32 v166, v101, v168
	v_fmac_f32_e32 v110, v96, v163
	v_fma_f32 v163, v97, v165, -v185
	v_fmac_f32_e32 v164, v98, v165
	ds_read2_b64 v[95:98], v147 offset0:98 offset1:223
	v_fma_f32 v165, v101, v167, -v111
	v_fmac_f32_e32 v166, v102, v167
	ds_read_b64 v[101:102], v146 offset:14000
	s_waitcnt vmcnt(7)
	v_mul_f32_e32 v168, v99, v144
	v_mul_f32_e32 v185, v100, v144
	s_waitcnt vmcnt(5) lgkmcnt(3)
	v_mul_f32_e32 v111, v87, v172
	v_mul_f32_e32 v144, v86, v172
	v_fmac_f32_e32 v168, v100, v143
	v_mul_f32_e32 v100, v84, v170
	v_fma_f32 v167, v99, v143, -v185
	v_mul_f32_e32 v99, v85, v170
	s_waitcnt vmcnt(4) lgkmcnt(2)
	v_mul_f32_e32 v172, v91, v174
	v_fma_f32 v143, v86, v171, -v111
	v_fmac_f32_e32 v100, v85, v169
	v_mul_f32_e32 v85, v90, v174
	v_fma_f32 v99, v84, v169, -v99
	s_waitcnt vmcnt(3)
	v_mul_f32_e32 v169, v89, v176
	v_fmac_f32_e32 v144, v87, v171
	v_mul_f32_e32 v87, v88, v176
	s_waitcnt vmcnt(1) lgkmcnt(1)
	v_mul_f32_e32 v171, v98, v180
	v_fma_f32 v84, v90, v173, -v172
	v_mul_f32_e32 v90, v97, v180
	v_mul_f32_e32 v111, v96, v178
	;; [unrolled: 1-line block ×3, first 2 shown]
	v_fmac_f32_e32 v85, v91, v173
	s_waitcnt vmcnt(0) lgkmcnt(0)
	v_mul_f32_e32 v91, v102, v182
	v_mul_f32_e32 v172, v101, v182
	v_fma_f32 v86, v88, v175, -v169
	v_fmac_f32_e32 v87, v89, v175
	v_fma_f32 v89, v97, v179, -v171
	v_fmac_f32_e32 v90, v98, v179
	v_fma_f32 v169, v95, v177, -v111
	v_fmac_f32_e32 v170, v96, v177
	v_fma_f32 v171, v101, v181, -v91
	v_fmac_f32_e32 v172, v102, v181
	ds_write2_b64 v146, v[183:184], v[103:104] offset1:125
	ds_write2_b64 v151, v[105:106], v[107:108] offset0:110 offset1:235
	ds_write2_b64 v149, v[109:110], v[163:164] offset0:92 offset1:217
	;; [unrolled: 1-line block ×6, first 2 shown]
	ds_write_b64 v146, v[171:172] offset:14000
	s_waitcnt lgkmcnt(0)
	s_barrier
	buffer_gl0_inv
	ds_read2_b64 v[84:87], v152 offset0:122 offset1:247
	ds_read2_b64 v[95:98], v151 offset0:110 offset1:235
	;; [unrolled: 1-line block ×4, first 2 shown]
	ds_read2_b64 v[88:91], v146 offset1:125
	ds_read2_b64 v[107:110], v147 offset0:98 offset1:223
	ds_read2_b64 v[163:166], v148 offset0:116 offset1:241
	s_waitcnt lgkmcnt(5)
	v_sub_f32_e32 v111, v86, v95
	s_waitcnt lgkmcnt(4)
	v_add_f32_e32 v144, v95, v101
	v_add_f32_e32 v167, v96, v102
	s_waitcnt lgkmcnt(2)
	v_add_f32_e32 v170, v88, v86
	v_add_f32_e32 v171, v89, v87
	s_waitcnt lgkmcnt(0)
	v_add_f32_e32 v179, v90, v163
	v_sub_f32_e32 v168, v87, v96
	v_sub_f32_e32 v174, v96, v102
	;; [unrolled: 1-line block ×5, first 2 shown]
	v_add_f32_e32 v178, v97, v107
	v_sub_f32_e32 v180, v97, v163
	v_add_f32_e32 v182, v91, v164
	v_sub_f32_e32 v185, v97, v107
	v_sub_f32_e32 v186, v163, v97
	v_add_f32_e32 v95, v170, v95
	v_add_f32_e32 v96, v171, v96
	;; [unrolled: 1-line block ×3, first 2 shown]
	v_sub_f32_e32 v143, v103, v101
	v_sub_f32_e32 v173, v86, v103
	v_add_f32_e32 v170, v182, v98
	v_sub_f32_e32 v179, v101, v103
	v_add_f32_e32 v95, v95, v101
	v_add_f32_e32 v96, v96, v102
	;; [unrolled: 1-line block ×5, first 2 shown]
	v_sub_f32_e32 v169, v104, v102
	v_sub_f32_e32 v172, v87, v104
	v_add_f32_e32 v181, v98, v108
	v_sub_f32_e32 v183, v98, v164
	v_sub_f32_e32 v184, v98, v108
	;; [unrolled: 1-line block ×3, first 2 shown]
	v_add_f32_e32 v98, v170, v108
	v_add_f32_e32 v95, v95, v103
	;; [unrolled: 1-line block ×5, first 2 shown]
	v_sub_f32_e32 v102, v102, v104
	v_add_f32_e32 v104, v163, v105
	v_sub_f32_e32 v170, v107, v105
	v_sub_f32_e32 v163, v163, v105
	;; [unrolled: 1-line block ×3, first 2 shown]
	v_add_f32_e32 v107, v86, v99
	v_add_f32_e32 v86, v85, v166
	;; [unrolled: 1-line block ×4, first 2 shown]
	v_sub_f32_e32 v187, v108, v106
	v_sub_f32_e32 v164, v164, v106
	;; [unrolled: 1-line block ×3, first 2 shown]
	v_add_f32_e32 v108, v86, v100
	ds_read_b64 v[86:87], v146 offset:14000
	v_add_f32_e32 v188, v99, v109
	v_add_f32_e32 v189, v100, v110
	v_sub_f32_e32 v190, v100, v166
	v_sub_f32_e32 v192, v100, v110
	v_sub_f32_e32 v193, v165, v99
	v_sub_f32_e32 v194, v99, v165
	v_sub_f32_e32 v195, v166, v100
	v_add_f32_e32 v108, v108, v110
	v_fma_f32 v100, -0.5, v167, v89
	v_add_f32_e32 v167, v168, v169
	v_add_f32_e32 v169, v177, v102
	v_fma_f32 v102, -0.5, v181, v91
	v_fmac_f32_e32 v91, -0.5, v182
	v_sub_f32_e32 v191, v99, v109
	v_add_f32_e32 v107, v107, v109
	v_fma_f32 v99, -0.5, v144, v88
	v_fma_f32 v88, -0.5, v101, v88
	;; [unrolled: 1-line block ×4, first 2 shown]
	s_waitcnt lgkmcnt(0)
	v_sub_f32_e32 v197, v165, v86
	v_add_f32_e32 v165, v165, v86
	v_sub_f32_e32 v198, v110, v87
	v_sub_f32_e32 v110, v87, v110
	v_add_f32_e32 v196, v166, v87
	v_sub_f32_e32 v199, v86, v109
	v_sub_f32_e32 v109, v109, v86
	v_fma_f32 v90, -0.5, v104, v90
	v_add_f32_e32 v170, v180, v170
	v_fma_f32 v103, -0.5, v188, v84
	v_add_f32_e32 v180, v195, v110
	v_fmamk_f32 v110, v185, 0xbf737871, v91
	v_fmac_f32_e32 v91, 0x3f737871, v185
	v_fma_f32 v84, -0.5, v165, v84
	v_sub_f32_e32 v166, v166, v87
	v_fma_f32 v104, -0.5, v189, v85
	v_fmac_f32_e32 v85, -0.5, v196
	v_add_f32_e32 v181, v194, v109
	v_fmamk_f32 v109, v184, 0x3f737871, v90
	v_fmac_f32_e32 v90, 0xbf737871, v184
	v_fmamk_f32 v144, v163, 0x3f737871, v102
	v_fmac_f32_e32 v102, 0xbf737871, v163
	v_fmac_f32_e32 v110, 0x3f167918, v163
	;; [unrolled: 1-line block ×3, first 2 shown]
	v_fmamk_f32 v163, v192, 0x3f737871, v84
	v_fmac_f32_e32 v84, 0xbf737871, v192
	v_add_f32_e32 v177, v186, v105
	v_add_f32_e32 v171, v171, v106
	v_fmamk_f32 v105, v172, 0xbf737871, v99
	v_fmamk_f32 v106, v173, 0x3f737871, v100
	v_add_f32_e32 v86, v107, v86
	v_add_f32_e32 v87, v108, v87
	v_fmamk_f32 v107, v174, 0x3f737871, v88
	v_fmac_f32_e32 v88, 0xbf737871, v174
	v_fmamk_f32 v108, v175, 0xbf737871, v89
	v_fmac_f32_e32 v89, 0x3f737871, v175
	v_fmac_f32_e32 v99, 0x3f737871, v172
	;; [unrolled: 1-line block ×3, first 2 shown]
	v_add_f32_e32 v111, v111, v143
	v_fmamk_f32 v143, v164, 0xbf737871, v101
	v_fmac_f32_e32 v101, 0x3f737871, v164
	v_fmac_f32_e32 v109, 0xbf167918, v164
	;; [unrolled: 1-line block ×3, first 2 shown]
	v_fmamk_f32 v165, v166, 0xbf737871, v103
	v_fmac_f32_e32 v103, 0x3f737871, v166
	v_fmac_f32_e32 v163, 0xbf167918, v166
	v_fmac_f32_e32 v84, 0x3f167918, v166
	v_fmamk_f32 v164, v191, 0xbf737871, v85
	v_fmac_f32_e32 v85, 0x3f737871, v191
	v_fmamk_f32 v166, v197, 0x3f737871, v104
	v_fmac_f32_e32 v104, 0xbf737871, v197
	v_fmac_f32_e32 v105, 0xbf167918, v174
	;; [unrolled: 1-line block ×3, first 2 shown]
	v_add_f32_e32 v168, v176, v179
	v_fmac_f32_e32 v107, 0xbf167918, v172
	v_fmac_f32_e32 v88, 0x3f167918, v172
	;; [unrolled: 1-line block ×6, first 2 shown]
	v_add_f32_e32 v176, v183, v187
	v_add_f32_e32 v178, v190, v198
	;; [unrolled: 1-line block ×3, first 2 shown]
	v_fmac_f32_e32 v143, 0xbf167918, v184
	v_fmac_f32_e32 v101, 0x3f167918, v184
	;; [unrolled: 1-line block ×30, first 2 shown]
	s_barrier
	buffer_gl0_inv
	v_fmac_f32_e32 v163, 0x3e9e377a, v181
	v_fmac_f32_e32 v165, 0x3e9e377a, v179
	v_fmac_f32_e32 v166, 0x3e9e377a, v180
	v_fmac_f32_e32 v164, 0x3e9e377a, v178
	ds_write2_b64 v92, v[95:96], v[105:106] offset1:1
	ds_write2_b64 v92, v[107:108], v[88:89] offset0:2 offset1:3
	ds_write_b64 v92, v[99:100] offset:32
	ds_write2_b64 v94, v[109:110], v[90:91] offset0:2 offset1:3
	ds_write2_b64 v94, v[97:98], v[143:144] offset1:1
	ds_write_b64 v94, v[101:102] offset:32
	ds_write2_b64 v93, v[86:87], v[165:166] offset1:1
	ds_write_b64 v93, v[103:104] offset:32
	ds_write2_b64 v93, v[163:164], v[84:85] offset0:2 offset1:3
	s_waitcnt lgkmcnt(0)
	s_barrier
	buffer_gl0_inv
	ds_read2_b64 v[92:95], v147 offset0:98 offset1:223
	ds_read2_b64 v[96:99], v149 offset0:92 offset1:217
	;; [unrolled: 1-line block ×6, first 2 shown]
	ds_read_b64 v[143:144], v146 offset:14000
	ds_read2_b64 v[88:91], v146 offset1:125
	s_waitcnt lgkmcnt(0)
	s_barrier
	buffer_gl0_inv
	v_mul_f32_e32 v163, v9, v95
	v_mul_f32_e32 v9, v9, v94
	;; [unrolled: 1-line block ×24, first 2 shown]
	v_fmac_f32_e32 v163, v8, v94
	v_fma_f32 v8, v8, v95, -v9
	v_fma_f32 v9, v20, v93, -v21
	;; [unrolled: 1-line block ×3, first 2 shown]
	v_fmac_f32_e32 v167, v12, v102
	v_fma_f32 v12, v12, v103, -v13
	v_fmac_f32_e32 v170, v4, v104
	v_fmac_f32_e32 v172, v2, v108
	;; [unrolled: 1-line block ×3, first 2 shown]
	v_fma_f32 v0, v0, v87, -v1
	v_fma_f32 v1, v2, v109, -v3
	v_fmac_f32_e32 v166, v14, v96
	v_fma_f32 v14, v16, v107, -v17
	v_fma_f32 v4, v4, v105, -v5
	v_fmac_f32_e32 v164, v20, v92
	v_fmac_f32_e32 v165, v22, v98
	v_fma_f32 v23, v22, v99, -v23
	v_fmac_f32_e32 v169, v16, v106
	v_fmac_f32_e32 v171, v6, v110
	v_fma_f32 v5, v6, v111, -v7
	v_fmac_f32_e32 v168, v18, v100
	v_fma_f32 v13, v18, v101, -v19
	;; [unrolled: 2-line block ×3, first 2 shown]
	v_add_f32_e32 v3, v89, v0
	v_add_f32_e32 v10, v172, v167
	v_add_f32_e32 v17, v1, v12
	v_sub_f32_e32 v18, v0, v1
	v_sub_f32_e32 v19, v1, v0
	;; [unrolled: 1-line block ×3, first 2 shown]
	v_add_f32_e32 v20, v0, v21
	v_add_f32_e32 v0, v90, v170
	;; [unrolled: 1-line block ×9, first 2 shown]
	v_sub_f32_e32 v106, v5, v4
	v_sub_f32_e32 v108, v4, v5
	v_add_f32_e32 v109, v4, v23
	v_sub_f32_e32 v110, v4, v23
	v_add_f32_e32 v4, v84, v169
	v_sub_f32_e32 v6, v173, v172
	v_sub_f32_e32 v7, v166, v167
	;; [unrolled: 1-line block ×5, first 2 shown]
	v_add_f32_e32 v170, v168, v163
	v_add_f32_e32 v179, v169, v174
	;; [unrolled: 1-line block ×3, first 2 shown]
	v_sub_f32_e32 v182, v14, v13
	v_sub_f32_e32 v183, v13, v14
	;; [unrolled: 1-line block ×3, first 2 shown]
	v_add_f32_e32 v14, v14, v87
	v_sub_f32_e32 v92, v173, v166
	v_sub_f32_e32 v11, v172, v173
	;; [unrolled: 1-line block ×5, first 2 shown]
	v_add_f32_e32 v186, v3, v1
	v_add_f32_e32 v171, v0, v171
	v_fma_f32 v0, -0.5, v10, v88
	v_fma_f32 v1, -0.5, v17, v89
	v_sub_f32_e32 v93, v172, v167
	v_sub_f32_e32 v103, v164, v165
	;; [unrolled: 1-line block ×5, first 2 shown]
	v_add_f32_e32 v172, v2, v172
	v_add_f32_e32 v96, v96, v5
	;; [unrolled: 1-line block ×3, first 2 shown]
	v_fma_f32 v2, -0.5, v16, v88
	v_fma_f32 v3, -0.5, v20, v89
	v_sub_f32_e32 v22, v21, v12
	v_sub_f32_e32 v107, v5, v9
	;; [unrolled: 1-line block ×5, first 2 shown]
	v_add_f32_e32 v168, v4, v168
	v_fma_f32 v4, -0.5, v97, v90
	v_fma_f32 v90, -0.5, v101, v90
	v_fma_f32 v5, -0.5, v105, v91
	v_fmac_f32_e32 v91, -0.5, v109
	v_sub_f32_e32 v86, v12, v21
	v_sub_f32_e32 v169, v169, v174
	v_add_f32_e32 v144, v6, v7
	v_fma_f32 v6, -0.5, v170, v84
	v_fma_f32 v84, -0.5, v179, v84
	v_fma_f32 v7, -0.5, v181, v85
	v_fmac_f32_e32 v85, -0.5, v14
	v_add_f32_e32 v189, v11, v15
	v_fmamk_f32 v10, v95, 0xbf737871, v0
	v_fmamk_f32 v11, v92, 0x3f737871, v1
	v_sub_f32_e32 v111, v9, v23
	v_sub_f32_e32 v185, v87, v8
	;; [unrolled: 1-line block ×3, first 2 shown]
	v_add_f32_e32 v89, v98, v103
	v_add_f32_e32 v98, v100, v104
	;; [unrolled: 1-line block ×5, first 2 shown]
	v_fmamk_f32 v8, v94, 0x3f737871, v2
	v_fmac_f32_e32 v2, 0xbf737871, v94
	v_fmamk_f32 v9, v93, 0xbf737871, v3
	v_fmac_f32_e32 v3, 0x3f737871, v93
	v_fmac_f32_e32 v0, 0x3f737871, v95
	;; [unrolled: 1-line block ×3, first 2 shown]
	v_add_f32_e32 v188, v18, v22
	v_add_f32_e32 v22, v186, v12
	v_fmamk_f32 v12, v107, 0x3f737871, v90
	v_fmac_f32_e32 v90, 0xbf737871, v107
	v_fmamk_f32 v13, v99, 0xbf737871, v91
	v_fmac_f32_e32 v91, 0x3f737871, v99
	v_sub_f32_e32 v177, v174, v163
	v_sub_f32_e32 v178, v163, v174
	v_add_f32_e32 v88, v19, v86
	v_fmamk_f32 v14, v110, 0xbf737871, v4
	v_fmac_f32_e32 v4, 0x3f737871, v110
	v_fmamk_f32 v15, v102, 0x3f737871, v5
	v_fmac_f32_e32 v5, 0xbf737871, v102
	;; [unrolled: 2-line block ×6, first 2 shown]
	v_add_f32_e32 v20, v172, v167
	v_fmac_f32_e32 v10, 0xbf167918, v94
	v_fmac_f32_e32 v11, 0x3f167918, v93
	;; [unrolled: 1-line block ×8, first 2 shown]
	v_add_f32_e32 v97, v106, v111
	v_fmac_f32_e32 v12, 0xbf167918, v110
	v_fmac_f32_e32 v90, 0x3f167918, v110
	;; [unrolled: 1-line block ×4, first 2 shown]
	v_add_f32_e32 v101, v173, v177
	v_add_f32_e32 v103, v175, v178
	;; [unrolled: 1-line block ×6, first 2 shown]
	v_fmac_f32_e32 v14, 0xbf167918, v107
	v_fmac_f32_e32 v4, 0x3f167918, v107
	;; [unrolled: 1-line block ×12, first 2 shown]
	v_add_f32_e32 v20, v20, v166
	v_add_f32_e32 v21, v22, v21
	v_fmac_f32_e32 v10, 0x3e9e377a, v144
	v_fmac_f32_e32 v11, 0x3e9e377a, v188
	;; [unrolled: 1-line block ×12, first 2 shown]
	v_add_f32_e32 v22, v86, v165
	v_add_f32_e32 v23, v96, v23
	v_add_f32_e32 v86, v106, v174
	v_add_f32_e32 v87, v108, v87
	v_fmac_f32_e32 v14, 0x3e9e377a, v98
	v_fmac_f32_e32 v4, 0x3e9e377a, v98
	;; [unrolled: 1-line block ×12, first 2 shown]
	ds_write2_b64 v153, v[20:21], v[10:11] offset1:5
	ds_write2_b64 v153, v[8:9], v[2:3] offset0:10 offset1:15
	ds_write_b64 v153, v[0:1] offset:160
	ds_write2_b64 v155, v[12:13], v[90:91] offset0:10 offset1:15
	ds_write2_b64 v155, v[22:23], v[14:15] offset1:5
	ds_write_b64 v155, v[4:5] offset:160
	ds_write2_b64 v154, v[86:87], v[16:17] offset1:5
	ds_write2_b64 v154, v[18:19], v[84:85] offset0:10 offset1:15
	ds_write_b64 v154, v[6:7] offset:160
	s_waitcnt lgkmcnt(0)
	s_barrier
	buffer_gl0_inv
	ds_read2_b64 v[0:3], v152 offset0:122 offset1:247
	ds_read2_b64 v[8:11], v151 offset0:110 offset1:235
	;; [unrolled: 1-line block ×6, first 2 shown]
	ds_read_b64 v[88:89], v146 offset:14000
	ds_read2_b64 v[4:7], v146 offset1:125
	s_waitcnt lgkmcnt(0)
	s_barrier
	buffer_gl0_inv
	v_mul_f32_e32 v90, v37, v3
	v_mul_f32_e32 v37, v37, v2
	;; [unrolled: 1-line block ×24, first 2 shown]
	v_fmac_f32_e32 v90, v36, v2
	v_fma_f32 v2, v36, v3, -v37
	v_fmac_f32_e32 v91, v38, v8
	v_fma_f32 v3, v38, v9, -v39
	;; [unrolled: 2-line block ×4, first 2 shown]
	v_fma_f32 v28, v30, v21, -v31
	v_fmac_f32_e32 v92, v34, v10
	v_fma_f32 v10, v40, v15, -v41
	v_fmac_f32_e32 v97, v30, v20
	;; [unrolled: 2-line block ×6, first 2 shown]
	v_fmac_f32_e32 v100, v44, v86
	v_fma_f32 v14, v44, v87, -v45
	v_fmac_f32_e32 v101, v46, v88
	v_fma_f32 v29, v46, v89, -v47
	v_add_f32_e32 v15, v4, v90
	v_add_f32_e32 v16, v91, v96
	;; [unrolled: 1-line block ×4, first 2 shown]
	v_sub_f32_e32 v24, v2, v3
	v_sub_f32_e32 v25, v3, v2
	;; [unrolled: 1-line block ×3, first 2 shown]
	v_add_f32_e32 v26, v2, v28
	v_add_f32_e32 v2, v6, v93
	;; [unrolled: 1-line block ×7, first 2 shown]
	v_sub_f32_e32 v47, v9, v8
	v_sub_f32_e32 v84, v8, v9
	;; [unrolled: 1-line block ×3, first 2 shown]
	v_add_f32_e32 v86, v9, v27
	v_add_f32_e32 v9, v0, v94
	v_sub_f32_e32 v18, v90, v91
	v_sub_f32_e32 v21, v91, v90
	;; [unrolled: 1-line block ×3, first 2 shown]
	v_add_f32_e32 v43, v93, v98
	v_add_f32_e32 v90, v95, v100
	;; [unrolled: 1-line block ×5, first 2 shown]
	v_sub_f32_e32 v30, v3, v12
	v_sub_f32_e32 v31, v91, v96
	;; [unrolled: 1-line block ×3, first 2 shown]
	v_add_f32_e32 v15, v15, v91
	v_add_f32_e32 v17, v17, v3
	;; [unrolled: 1-line block ×4, first 2 shown]
	v_fma_f32 v2, -0.5, v16, v4
	v_fma_f32 v3, -0.5, v23, v5
	v_sub_f32_e32 v34, v28, v12
	v_fma_f32 v4, -0.5, v20, v4
	v_fma_f32 v5, -0.5, v26, v5
	v_add_f32_e32 v16, v89, v11
	v_sub_f32_e32 v38, v93, v92
	v_sub_f32_e32 v39, v92, v93
	v_sub_f32_e32 v40, v92, v99
	v_sub_f32_e32 v44, v93, v98
	v_sub_f32_e32 v45, v8, v13
	v_add_f32_e32 v92, v9, v95
	v_fma_f32 v8, -0.5, v37, v6
	v_fma_f32 v9, -0.5, v46, v7
	v_sub_f32_e32 v19, v97, v96
	v_sub_f32_e32 v22, v96, v97
	;; [unrolled: 1-line block ×10, first 2 shown]
	v_fma_f32 v6, -0.5, v43, v6
	v_fmac_f32_e32 v7, -0.5, v86
	v_fma_f32 v10, -0.5, v90, v0
	v_fma_f32 v0, -0.5, v106, v0
	;; [unrolled: 1-line block ×3, first 2 shown]
	v_fmac_f32_e32 v1, -0.5, v143
	v_sub_f32_e32 v87, v27, v13
	v_sub_f32_e32 v88, v13, v27
	v_add_f32_e32 v35, v25, v35
	v_add_f32_e32 v25, v17, v12
	;; [unrolled: 1-line block ×3, first 2 shown]
	v_fmamk_f32 v12, v33, 0xbf737871, v2
	v_fmamk_f32 v13, v32, 0x3f737871, v3
	v_sub_f32_e32 v144, v29, v14
	v_sub_f32_e32 v153, v14, v29
	v_add_f32_e32 v34, v24, v34
	v_add_f32_e32 v24, v15, v96
	;; [unrolled: 1-line block ×3, first 2 shown]
	v_fmamk_f32 v14, v30, 0x3f737871, v4
	v_fmac_f32_e32 v4, 0xbf737871, v30
	v_fmamk_f32 v15, v31, 0xbf737871, v5
	v_fmac_f32_e32 v5, 0x3f737871, v31
	v_fmac_f32_e32 v2, 0x3f737871, v33
	;; [unrolled: 1-line block ×3, first 2 shown]
	v_sub_f32_e32 v41, v98, v99
	v_sub_f32_e32 v42, v99, v98
	v_fmamk_f32 v16, v85, 0xbf737871, v8
	v_fmamk_f32 v17, v44, 0x3f737871, v9
	v_sub_f32_e32 v104, v101, v100
	v_sub_f32_e32 v105, v100, v101
	v_add_f32_e32 v95, v18, v19
	v_add_f32_e32 v154, v21, v22
	v_fmac_f32_e32 v8, 0x3f737871, v85
	v_fmamk_f32 v18, v45, 0x3f737871, v6
	v_fmac_f32_e32 v6, 0xbf737871, v45
	v_fmac_f32_e32 v9, 0xbf737871, v44
	v_fmamk_f32 v19, v40, 0xbf737871, v7
	v_fmac_f32_e32 v7, 0x3f737871, v40
	v_fmamk_f32 v20, v111, 0xbf737871, v10
	;; [unrolled: 2-line block ×5, first 2 shown]
	v_fmac_f32_e32 v1, 0x3f737871, v103
	v_fmac_f32_e32 v12, 0xbf167918, v30
	;; [unrolled: 1-line block ×9, first 2 shown]
	v_add_f32_e32 v38, v38, v41
	v_add_f32_e32 v37, v39, v42
	;; [unrolled: 1-line block ×4, first 2 shown]
	v_fmac_f32_e32 v16, 0xbf167918, v45
	v_fmac_f32_e32 v17, 0x3f167918, v40
	v_add_f32_e32 v41, v84, v88
	v_add_f32_e32 v42, v93, v104
	;; [unrolled: 1-line block ×6, first 2 shown]
	v_fmac_f32_e32 v8, 0x3f167918, v45
	v_fmac_f32_e32 v18, 0xbf167918, v85
	;; [unrolled: 1-line block ×14, first 2 shown]
	v_add_f32_e32 v24, v24, v97
	v_add_f32_e32 v25, v25, v28
	v_fmac_f32_e32 v12, 0x3e9e377a, v95
	v_fmac_f32_e32 v13, 0x3e9e377a, v34
	;; [unrolled: 1-line block ×8, first 2 shown]
	v_add_f32_e32 v26, v26, v98
	v_add_f32_e32 v27, v36, v27
	v_fmac_f32_e32 v16, 0x3e9e377a, v38
	v_fmac_f32_e32 v17, 0x3e9e377a, v39
	v_add_f32_e32 v28, v84, v101
	v_add_f32_e32 v29, v86, v29
	v_fmac_f32_e32 v8, 0x3e9e377a, v38
	v_fmac_f32_e32 v18, 0x3e9e377a, v37
	;; [unrolled: 1-line block ×14, first 2 shown]
	ds_write2_b64 v158, v[24:25], v[12:13] offset1:25
	ds_write2_b64 v158, v[14:15], v[4:5] offset0:50 offset1:75
	ds_write_b64 v158, v[2:3] offset:800
	ds_write2_b64 v157, v[26:27], v[16:17] offset1:25
	ds_write2_b64 v157, v[18:19], v[6:7] offset0:50 offset1:75
	ds_write_b64 v157, v[8:9] offset:800
	;; [unrolled: 3-line block ×3, first 2 shown]
	s_waitcnt lgkmcnt(0)
	s_barrier
	buffer_gl0_inv
	ds_read2_b64 v[0:3], v152 offset0:122 offset1:247
	ds_read2_b64 v[8:11], v151 offset0:110 offset1:235
	;; [unrolled: 1-line block ×6, first 2 shown]
	ds_read2_b64 v[4:7], v146 offset1:125
	ds_read_b64 v[28:29], v146 offset:14000
	s_waitcnt lgkmcnt(0)
	s_barrier
	buffer_gl0_inv
	v_mul_f32_e32 v30, v53, v3
	v_mul_f32_e32 v32, v55, v9
	;; [unrolled: 1-line block ×24, first 2 shown]
	v_fmac_f32_e32 v32, v54, v8
	v_fma_f32 v8, v54, v9, -v33
	v_fmac_f32_e32 v34, v48, v14
	v_fma_f32 v14, v48, v15, -v35
	;; [unrolled: 2-line block ×8, first 2 shown]
	v_fma_f32 v10, v56, v23, -v47
	v_fmac_f32_e32 v46, v56, v22
	v_fmac_f32_e32 v49, v58, v12
	v_fma_f32 v12, v58, v13, -v51
	v_fmac_f32_e32 v53, v60, v26
	v_fma_f32 v17, v60, v27, -v55
	;; [unrolled: 2-line block ×3, first 2 shown]
	v_add_f32_e32 v13, v32, v34
	v_add_f32_e32 v23, v8, v14
	;; [unrolled: 1-line block ×3, first 2 shown]
	v_sub_f32_e32 v15, v30, v32
	v_sub_f32_e32 v18, v36, v34
	v_add_f32_e32 v19, v30, v36
	v_add_f32_e32 v22, v5, v2
	;; [unrolled: 1-line block ×3, first 2 shown]
	v_sub_f32_e32 v20, v32, v30
	v_sub_f32_e32 v21, v34, v36
	v_add_f32_e32 v41, v6, v38
	v_add_f32_e32 v43, v40, v42
	;; [unrolled: 1-line block ×12, first 2 shown]
	v_sub_f32_e32 v24, v2, v31
	v_sub_f32_e32 v26, v30, v36
	;; [unrolled: 1-line block ×7, first 2 shown]
	v_fma_f32 v2, -0.5, v13, v4
	v_fma_f32 v3, -0.5, v23, v5
	v_sub_f32_e32 v25, v8, v14
	v_sub_f32_e32 v27, v32, v34
	;; [unrolled: 1-line block ×3, first 2 shown]
	v_add_f32_e32 v32, v11, v32
	v_add_f32_e32 v101, v15, v18
	;; [unrolled: 1-line block ×3, first 2 shown]
	v_fma_f32 v4, -0.5, v19, v4
	v_fma_f32 v5, -0.5, v35, v5
	v_sub_f32_e32 v39, v14, v31
	v_sub_f32_e32 v47, v9, v16
	;; [unrolled: 1-line block ×7, first 2 shown]
	v_add_f32_e32 v102, v20, v21
	v_add_f32_e32 v18, v41, v40
	v_fma_f32 v8, -0.5, v43, v6
	v_fma_f32 v6, -0.5, v51, v6
	v_add_f32_e32 v19, v55, v9
	v_fma_f32 v9, -0.5, v56, v7
	v_fmac_f32_e32 v7, -0.5, v61
	v_add_f32_e32 v20, v92, v12
	v_sub_f32_e32 v86, v10, v29
	v_sub_f32_e32 v87, v46, v49
	;; [unrolled: 1-line block ×8, first 2 shown]
	v_fma_f32 v10, -0.5, v85, v0
	v_fma_f32 v0, -0.5, v89, v0
	;; [unrolled: 1-line block ×3, first 2 shown]
	v_add_f32_e32 v21, v84, v49
	v_fmac_f32_e32 v1, -0.5, v98
	v_fmamk_f32 v12, v24, 0xbf737871, v2
	v_fmamk_f32 v13, v26, 0x3f737871, v3
	v_add_f32_e32 v30, v28, v30
	v_add_f32_e32 v28, v32, v34
	v_add_f32_e32 v32, v15, v14
	v_fmamk_f32 v14, v25, 0x3f737871, v4
	v_fmac_f32_e32 v4, 0xbf737871, v25
	v_fmamk_f32 v15, v27, 0xbf737871, v5
	v_fmac_f32_e32 v5, 0x3f737871, v27
	v_fmac_f32_e32 v2, 0x3f737871, v24
	;; [unrolled: 1-line block ×3, first 2 shown]
	v_sub_f32_e32 v50, v44, v42
	v_sub_f32_e32 v60, v33, v16
	v_sub_f32_e32 v63, v16, v33
	v_sub_f32_e32 v95, v29, v17
	v_sub_f32_e32 v99, v17, v29
	v_add_f32_e32 v35, v37, v39
	v_add_f32_e32 v39, v52, v54
	;; [unrolled: 1-line block ×4, first 2 shown]
	v_fmamk_f32 v16, v45, 0xbf737871, v8
	v_add_f32_e32 v52, v20, v17
	v_fmamk_f32 v18, v47, 0x3f737871, v6
	v_fmamk_f32 v17, v38, 0x3f737871, v9
	;; [unrolled: 1-line block ×3, first 2 shown]
	v_sub_f32_e32 v88, v57, v53
	v_sub_f32_e32 v91, v53, v57
	v_fmac_f32_e32 v8, 0x3f737871, v45
	v_add_f32_e32 v51, v21, v53
	v_fmac_f32_e32 v6, 0xbf737871, v47
	v_fmac_f32_e32 v9, 0xbf737871, v38
	;; [unrolled: 1-line block ×3, first 2 shown]
	v_fmamk_f32 v20, v86, 0xbf737871, v10
	v_fmac_f32_e32 v10, 0x3f737871, v86
	v_fmamk_f32 v22, v96, 0x3f737871, v0
	v_fmac_f32_e32 v0, 0xbf737871, v96
	;; [unrolled: 2-line block ×4, first 2 shown]
	v_fmac_f32_e32 v12, 0xbf167918, v25
	v_fmac_f32_e32 v13, 0x3f167918, v27
	;; [unrolled: 1-line block ×8, first 2 shown]
	v_add_f32_e32 v37, v48, v50
	v_add_f32_e32 v40, v59, v60
	;; [unrolled: 1-line block ×3, first 2 shown]
	v_fmac_f32_e32 v16, 0xbf167918, v47
	v_fmac_f32_e32 v18, 0xbf167918, v45
	;; [unrolled: 1-line block ×4, first 2 shown]
	v_add_f32_e32 v43, v87, v88
	v_add_f32_e32 v48, v90, v91
	;; [unrolled: 1-line block ×4, first 2 shown]
	v_fmac_f32_e32 v8, 0x3f167918, v47
	v_fmac_f32_e32 v6, 0x3f167918, v45
	v_fmac_f32_e32 v9, 0xbf167918, v58
	v_fmac_f32_e32 v7, 0xbf167918, v38
	v_fmac_f32_e32 v20, 0xbf167918, v96
	v_fmac_f32_e32 v10, 0x3f167918, v96
	v_fmac_f32_e32 v22, 0xbf167918, v86
	v_fmac_f32_e32 v0, 0x3f167918, v86
	v_fmac_f32_e32 v21, 0x3f167918, v100
	v_fmac_f32_e32 v11, 0xbf167918, v100
	v_fmac_f32_e32 v23, 0x3f167918, v46
	v_fmac_f32_e32 v1, 0xbf167918, v46
	v_add_f32_e32 v24, v28, v36
	v_add_f32_e32 v25, v32, v31
	v_fmac_f32_e32 v12, 0x3e9e377a, v101
	v_fmac_f32_e32 v13, 0x3e9e377a, v30
	v_fmac_f32_e32 v14, 0x3e9e377a, v102
	v_fmac_f32_e32 v4, 0x3e9e377a, v102
	v_fmac_f32_e32 v15, 0x3e9e377a, v35
	v_fmac_f32_e32 v5, 0x3e9e377a, v35
	v_add_f32_e32 v26, v34, v44
	v_add_f32_e32 v27, v42, v33
	v_fmac_f32_e32 v2, 0x3e9e377a, v101
	v_fmac_f32_e32 v3, 0x3e9e377a, v30
	v_fmac_f32_e32 v16, 0x3e9e377a, v37
	v_fmac_f32_e32 v18, 0x3e9e377a, v39
	v_fmac_f32_e32 v17, 0x3e9e377a, v40
	v_fmac_f32_e32 v19, 0x3e9e377a, v41
	;; [unrolled: 8-line block ×3, first 2 shown]
	v_fmac_f32_e32 v22, 0x3e9e377a, v48
	v_fmac_f32_e32 v0, 0x3e9e377a, v48
	;; [unrolled: 1-line block ×6, first 2 shown]
	ds_write2_b64 v146, v[24:25], v[12:13] offset1:125
	ds_write2_b64 v152, v[14:15], v[4:5] offset0:122 offset1:247
	ds_write2_b64 v148, v[2:3], v[26:27] offset0:116 offset1:241
	;; [unrolled: 1-line block ×6, first 2 shown]
	ds_write_b64 v159, v[10:11] offset:14000
	s_waitcnt lgkmcnt(0)
	s_barrier
	buffer_gl0_inv
	ds_read2_b64 v[0:3], v148 offset0:116 offset1:241
	ds_read2_b64 v[4:7], v147 offset0:98 offset1:223
	;; [unrolled: 1-line block ×5, first 2 shown]
	ds_read2_b64 v[20:23], v146 offset1:125
	ds_read_b64 v[28:29], v146 offset:14000
	ds_read2_b64 v[24:27], v152 offset0:122 offset1:247
	s_waitcnt lgkmcnt(7)
	v_mul_f32_e32 v30, v81, v3
	v_mul_f32_e32 v31, v81, v2
	s_waitcnt lgkmcnt(6)
	v_mul_f32_e32 v32, v83, v5
	v_mul_f32_e32 v33, v83, v4
	;; [unrolled: 3-line block ×3, first 2 shown]
	v_mul_f32_e32 v36, v75, v7
	v_mul_f32_e32 v37, v75, v6
	;; [unrolled: 1-line block ×4, first 2 shown]
	s_waitcnt lgkmcnt(4)
	v_mul_f32_e32 v40, v71, v13
	v_mul_f32_e32 v41, v71, v12
	s_waitcnt lgkmcnt(3)
	v_mul_f32_e32 v42, v65, v17
	v_mul_f32_e32 v45, v67, v14
	v_fmac_f32_e32 v30, v80, v2
	v_fma_f32 v2, v80, v3, -v31
	v_fmac_f32_e32 v32, v82, v4
	v_fma_f32 v3, v82, v5, -v33
	;; [unrolled: 2-line block ×4, first 2 shown]
	v_mul_f32_e32 v43, v65, v16
	v_mul_f32_e32 v44, v67, v15
	v_fmac_f32_e32 v38, v68, v10
	v_fma_f32 v31, v68, v11, -v39
	v_fmac_f32_e32 v40, v70, v12
	v_fma_f32 v33, v70, v13, -v41
	;; [unrolled: 2-line block ×3, first 2 shown]
	s_waitcnt lgkmcnt(2)
	v_add_f32_e32 v5, v20, v30
	v_add_f32_e32 v6, v30, v32
	;; [unrolled: 1-line block ×7, first 2 shown]
	v_mul_f32_e32 v46, v77, v19
	v_mul_f32_e32 v47, v77, v18
	v_fma_f32 v35, v64, v17, -v43
	v_fmac_f32_e32 v44, v66, v14
	v_sub_f32_e32 v9, v2, v3
	v_add_f32_e32 v8, v21, v2
	v_sub_f32_e32 v11, v30, v32
	v_sub_f32_e32 v14, v4, v7
	;; [unrolled: 1-line block ×3, first 2 shown]
	v_add_f32_e32 v2, v5, v32
	v_fma_f32 v4, -0.5, v6, v20
	v_fma_f32 v5, -0.5, v10, v21
	v_add_f32_e32 v6, v12, v36
	v_fma_f32 v22, -0.5, v13, v22
	v_fmac_f32_e32 v23, -0.5, v16
	v_add_f32_e32 v7, v15, v7
	v_add_f32_e32 v12, v38, v40
	s_waitcnt lgkmcnt(0)
	v_add_f32_e32 v13, v24, v38
	v_add_f32_e32 v15, v31, v33
	v_fmac_f32_e32 v46, v76, v18
	v_fma_f32 v39, v76, v19, -v47
	v_add_f32_e32 v3, v8, v3
	v_fmamk_f32 v8, v9, 0xbf5db3d7, v4
	v_fmac_f32_e32 v4, 0x3f5db3d7, v9
	v_fmamk_f32 v9, v11, 0x3f5db3d7, v5
	v_fmac_f32_e32 v5, 0xbf5db3d7, v11
	;; [unrolled: 2-line block ×4, first 2 shown]
	v_fma_f32 v12, -0.5, v12, v24
	v_sub_f32_e32 v17, v31, v33
	v_add_f32_e32 v14, v13, v40
	v_add_f32_e32 v18, v25, v31
	v_fma_f32 v13, -0.5, v15, v25
	v_sub_f32_e32 v19, v38, v40
	v_mul_f32_e32 v48, v79, v29
	v_mul_f32_e32 v49, v79, v28
	v_fmamk_f32 v16, v17, 0xbf5db3d7, v12
	v_fmac_f32_e32 v12, 0x3f5db3d7, v17
	v_add_f32_e32 v15, v18, v33
	v_add_f32_e32 v18, v42, v44
	v_fmamk_f32 v17, v19, 0x3f5db3d7, v13
	v_fmac_f32_e32 v13, 0xbf5db3d7, v19
	v_add_f32_e32 v19, v35, v37
	v_fmac_f32_e32 v48, v78, v28
	v_fma_f32 v29, v78, v29, -v49
	v_add_f32_e32 v20, v26, v42
	v_fma_f32 v26, -0.5, v18, v26
	v_sub_f32_e32 v21, v35, v37
	v_add_f32_e32 v24, v27, v35
	v_fmac_f32_e32 v27, -0.5, v19
	v_sub_f32_e32 v25, v42, v44
	v_add_f32_e32 v18, v20, v44
	v_fmamk_f32 v20, v21, 0xbf5db3d7, v26
	v_fmac_f32_e32 v26, 0x3f5db3d7, v21
	v_add_f32_e32 v19, v24, v37
	v_add_f32_e32 v24, v46, v48
	v_fmamk_f32 v21, v25, 0x3f5db3d7, v27
	v_fmac_f32_e32 v27, 0xbf5db3d7, v25
	v_add_f32_e32 v25, v39, v29
	v_add_f32_e32 v28, v0, v46
	v_fma_f32 v0, -0.5, v24, v0
	v_sub_f32_e32 v30, v39, v29
	v_add_f32_e32 v31, v1, v39
	v_fmac_f32_e32 v1, -0.5, v25
	v_sub_f32_e32 v32, v46, v48
	v_add_f32_e32 v24, v28, v48
	v_fmamk_f32 v28, v30, 0xbf5db3d7, v0
	v_fmac_f32_e32 v0, 0x3f5db3d7, v30
	v_add_f32_e32 v25, v31, v29
	v_fmamk_f32 v29, v32, 0x3f5db3d7, v1
	v_fmac_f32_e32 v1, 0xbf5db3d7, v32
	ds_write_b64 v146, v[8:9] offset:5000
	ds_write_b64 v146, v[4:5] offset:10000
	ds_write2_b64 v146, v[2:3], v[6:7] offset1:125
	ds_write2_b64 v151, v[10:11], v[16:17] offset0:110 offset1:235
	ds_write2_b64 v160, v[22:23], v[12:13] offset0:95 offset1:220
	ds_write2_b64 v152, v[14:15], v[18:19] offset0:122 offset1:247
	ds_write_b64 v146, v[26:27] offset:13000
	ds_write_b64 v146, v[24:25] offset:4000
	ds_write2_b64 v150, v[20:21], v[28:29] offset0:104 offset1:229
	ds_write_b64 v146, v[0:1] offset:14000
	s_waitcnt lgkmcnt(0)
	s_barrier
	buffer_gl0_inv
	ds_read2_b64 v[0:3], v146 offset1:125
	v_mad_u64_u32 v[18:19], null, s2, v114, 0
	v_mad_u64_u32 v[22:23], null, s0, v145, 0
	v_mov_b32_e32 v14, v23
	s_waitcnt lgkmcnt(0)
	v_mul_f32_e32 v4, v140, v1
	v_mul_f32_e32 v5, v140, v0
	v_fmac_f32_e32 v4, v139, v0
	v_fma_f32 v5, v139, v1, -v5
	v_cvt_f64_f32_e32 v[0:1], v4
	v_cvt_f64_f32_e32 v[8:9], v5
	ds_read2_b64 v[4:7], v152 offset0:122 offset1:247
	s_waitcnt lgkmcnt(0)
	v_mul_f32_e32 v11, v142, v7
	v_mul_f32_e32 v10, v142, v6
	v_mul_f64 v[20:21], v[8:9], s[6:7]
	v_mul_f64 v[0:1], v[0:1], s[6:7]
	v_fmac_f32_e32 v11, v141, v6
	v_fma_f32 v12, v141, v7, -v10
	v_mov_b32_e32 v10, v19
	ds_read2_b64 v[6:9], v151 offset0:110 offset1:235
	v_cvt_f64_f32_e32 v[24:25], v11
	v_cvt_f64_f32_e32 v[26:27], v12
	v_mad_u64_u32 v[28:29], null, s3, v114, v[10:11]
	ds_read2_b64 v[10:13], v150 offset0:104 offset1:229
	v_mad_u64_u32 v[29:30], null, s1, v145, v[14:15]
	ds_read2_b64 v[14:17], v149 offset0:92 offset1:217
	s_load_dwordx2 s[2:3], s[4:5], 0x38
	v_mov_b32_e32 v19, v28
	v_mov_b32_e32 v23, v29
	v_cvt_f32_f64_e32 v0, v[0:1]
	v_cvt_f32_f64_e32 v1, v[20:21]
	v_lshlrev_b64 v[18:19], 3, v[18:19]
	s_waitcnt lgkmcnt(0)
	v_mul_f32_e32 v28, v138, v7
	v_lshlrev_b64 v[20:21], 3, v[22:23]
	v_mul_f64 v[22:23], v[24:25], s[6:7]
	v_fmac_f32_e32 v28, v137, v6
	v_mul_f32_e32 v29, v136, v13
	v_mul_f32_e32 v30, v136, v12
	;; [unrolled: 1-line block ×4, first 2 shown]
	v_mul_f64 v[24:25], v[26:27], s[6:7]
	v_fmac_f32_e32 v29, v135, v12
	v_fma_f32 v12, v135, v13, -v30
	v_mul_f32_e32 v13, v134, v14
	v_cvt_f64_f32_e32 v[26:27], v28
	v_fma_f32 v6, v137, v7, -v6
	v_fmac_f32_e32 v32, v133, v14
	v_cvt_f64_f32_e32 v[30:31], v12
	v_fma_f32 v12, v133, v15, -v13
	v_add_co_u32 v34, vcc_lo, s2, v18
	v_cvt_f64_f32_e32 v[28:29], v29
	v_cvt_f64_f32_e32 v[6:7], v6
	;; [unrolled: 1-line block ×3, first 2 shown]
	v_add_co_ci_u32_e32 v35, vcc_lo, s3, v19, vcc_lo
	v_cvt_f64_f32_e32 v[18:19], v12
	v_add_co_u32 v20, vcc_lo, v34, v20
	v_add_co_ci_u32_e32 v21, vcc_lo, v35, v21, vcc_lo
	v_mul_f32_e32 v34, v128, v3
	ds_read2_b64 v[12:15], v148 offset0:116 offset1:241
	v_cvt_f32_f64_e32 v22, v[22:23]
	global_store_dwordx2 v[20:21], v[0:1], off
	v_cvt_f32_f64_e32 v23, v[24:25]
	v_mul_f64 v[0:1], v[26:27], s[6:7]
	v_fmac_f32_e32 v34, v127, v2
	v_mul_f32_e32 v2, v128, v2
	v_mul_f64 v[26:27], v[30:31], s[6:7]
	s_mul_i32 s2, s1, 0xbb8
	s_mul_hi_u32 s3, s0, 0xbb8
	v_cvt_f64_f32_e32 v[30:31], v34
	v_fma_f32 v2, v127, v3, -v2
	v_mul_f64 v[24:25], v[28:29], s[6:7]
	v_mul_f64 v[6:7], v[6:7], s[6:7]
	;; [unrolled: 1-line block ×3, first 2 shown]
	s_add_i32 s2, s3, s2
	v_mul_f64 v[18:19], v[18:19], s[6:7]
	v_cvt_f64_f32_e32 v[2:3], v2
	s_mul_i32 s3, s0, 0xbb8
	s_mulk_i32 s1, 0xd508
	s_waitcnt lgkmcnt(0)
	v_mul_f32_e32 v32, v132, v13
	v_mul_f32_e32 v33, v132, v12
	v_add_co_u32 v20, vcc_lo, v20, s3
	v_add_co_ci_u32_e32 v21, vcc_lo, s2, v21, vcc_lo
	v_cvt_f32_f64_e32 v34, v[0:1]
	v_mul_f32_e32 v0, v130, v9
	v_fmac_f32_e32 v32, v131, v12
	v_fma_f32 v33, v131, v13, -v33
	s_sub_i32 s1, s1, s0
	v_fmac_f32_e32 v0, v129, v8
	v_mul_f32_e32 v8, v130, v8
	v_cvt_f32_f64_e32 v24, v[24:25]
	v_cvt_f32_f64_e32 v25, v[26:27]
	;; [unrolled: 1-line block ×5, first 2 shown]
	v_mul_f64 v[18:19], v[30:31], s[6:7]
	v_mul_f64 v[30:31], v[2:3], s[6:7]
	v_cvt_f64_f32_e32 v[38:39], v0
	ds_read2_b64 v[0:3], v147 offset0:98 offset1:223
	v_cvt_f64_f32_e32 v[12:13], v32
	v_cvt_f64_f32_e32 v[32:33], v33
	v_fma_f32 v8, v129, v9, -v8
	v_add_co_u32 v6, vcc_lo, v20, s3
	v_add_co_ci_u32_e32 v7, vcc_lo, s2, v21, vcc_lo
	v_cvt_f64_f32_e32 v[8:9], v8
	v_add_co_u32 v28, vcc_lo, v6, s3
	v_add_co_ci_u32_e32 v29, vcc_lo, s2, v7, vcc_lo
	global_store_dwordx2 v[20:21], v[22:23], off
	global_store_dwordx2 v[6:7], v[34:35], off
	v_add_co_u32 v36, vcc_lo, v28, s3
	v_add_co_ci_u32_e32 v37, vcc_lo, s2, v29, vcc_lo
	global_store_dwordx2 v[28:29], v[24:25], off
	global_store_dwordx2 v[36:37], v[26:27], off
	s_waitcnt lgkmcnt(0)
	v_mul_f32_e32 v24, v126, v1
	v_mul_f32_e32 v25, v126, v0
	;; [unrolled: 1-line block ×3, first 2 shown]
	v_mul_f64 v[12:13], v[12:13], s[6:7]
	v_mul_f64 v[32:33], v[32:33], s[6:7]
	v_mul_f32_e32 v27, v124, v16
	v_fmac_f32_e32 v24, v125, v0
	v_fma_f32 v25, v125, v1, -v25
	v_fmac_f32_e32 v26, v123, v16
	v_mul_f64 v[0:1], v[8:9], s[6:7]
	v_fma_f32 v28, v123, v17, -v27
	v_cvt_f64_f32_e32 v[8:9], v24
	v_cvt_f64_f32_e32 v[16:17], v25
	;; [unrolled: 1-line block ×3, first 2 shown]
	ds_read_b64 v[26:27], v146 offset:14000
	v_mul_f32_e32 v34, v118, v11
	v_cvt_f32_f64_e32 v18, v[18:19]
	v_cvt_f32_f64_e32 v19, v[30:31]
	v_mul_f32_e32 v30, v113, v5
	v_mul_f32_e32 v31, v113, v4
	v_fmac_f32_e32 v34, v117, v10
	v_mul_f32_e32 v10, v118, v10
	v_mad_u64_u32 v[6:7], null, 0xffffd508, s0, v[36:37]
	v_mul_f32_e32 v36, v120, v3
	v_cvt_f32_f64_e32 v12, v[12:13]
	v_cvt_f32_f64_e32 v13, v[32:33]
	v_mul_f32_e32 v32, v116, v15
	v_mul_f32_e32 v33, v116, v14
	;; [unrolled: 1-line block ×3, first 2 shown]
	v_mul_f64 v[22:23], v[38:39], s[6:7]
	v_fmac_f32_e32 v30, v112, v4
	v_fma_f32 v31, v112, v5, -v31
	v_fmac_f32_e32 v32, v115, v14
	s_waitcnt lgkmcnt(0)
	v_mul_f32_e32 v38, v122, v27
	v_mul_f32_e32 v39, v122, v26
	v_fma_f32 v33, v115, v15, -v33
	v_cvt_f64_f32_e32 v[28:29], v28
	v_fma_f32 v10, v117, v11, -v10
	v_fmac_f32_e32 v36, v119, v2
	v_fma_f32 v37, v119, v3, -v37
	v_fmac_f32_e32 v38, v121, v26
	v_fma_f32 v39, v121, v27, -v39
	v_cvt_f64_f32_e32 v[4:5], v30
	v_cvt_f64_f32_e32 v[14:15], v31
	;; [unrolled: 1-line block ×10, first 2 shown]
	v_add_nc_u32_e32 v7, s1, v7
	v_mul_f64 v[8:9], v[8:9], s[6:7]
	v_mul_f64 v[16:17], v[16:17], s[6:7]
	v_add_co_u32 v20, vcc_lo, v6, s3
	v_add_co_ci_u32_e32 v21, vcc_lo, s2, v7, vcc_lo
	v_mul_f64 v[24:25], v[24:25], s[6:7]
	v_mul_f64 v[28:29], v[28:29], s[6:7]
	v_add_co_u32 v40, vcc_lo, v20, s3
	v_add_co_ci_u32_e32 v41, vcc_lo, s2, v21, vcc_lo
	v_mul_f64 v[4:5], v[4:5], s[6:7]
	v_mul_f64 v[14:15], v[14:15], s[6:7]
	;; [unrolled: 1-line block ×6, first 2 shown]
	v_add_co_u32 v42, vcc_lo, v40, s3
	v_mul_f64 v[10:11], v[10:11], s[6:7]
	v_mul_f64 v[26:27], v[26:27], s[6:7]
	v_mul_f64 v[36:37], v[36:37], s[6:7]
	v_mul_f64 v[38:39], v[38:39], s[6:7]
	v_add_co_ci_u32_e32 v43, vcc_lo, s2, v41, vcc_lo
	v_add_co_u32 v44, vcc_lo, v42, s3
	global_store_dwordx2 v[6:7], v[18:19], off
	v_cvt_f32_f64_e32 v6, v[22:23]
	v_cvt_f32_f64_e32 v7, v[0:1]
	v_add_co_ci_u32_e32 v45, vcc_lo, s2, v43, vcc_lo
	v_cvt_f32_f64_e32 v8, v[8:9]
	v_cvt_f32_f64_e32 v9, v[16:17]
	global_store_dwordx2 v[20:21], v[12:13], off
	v_mad_u64_u32 v[0:1], null, 0xffffd508, s0, v[44:45]
	v_cvt_f32_f64_e32 v12, v[24:25]
	v_cvt_f32_f64_e32 v13, v[28:29]
	;; [unrolled: 1-line block ×6, first 2 shown]
	v_add_nc_u32_e32 v1, s1, v1
	v_cvt_f32_f64_e32 v16, v[34:35]
	v_cvt_f32_f64_e32 v17, v[2:3]
	;; [unrolled: 1-line block ×6, first 2 shown]
	v_add_co_u32 v18, vcc_lo, v0, s3
	v_add_co_ci_u32_e32 v19, vcc_lo, s2, v1, vcc_lo
	global_store_dwordx2 v[40:41], v[6:7], off
	v_add_co_u32 v6, vcc_lo, v18, s3
	v_add_co_ci_u32_e32 v7, vcc_lo, s2, v19, vcc_lo
	global_store_dwordx2 v[42:43], v[8:9], off
	;; [unrolled: 3-line block ×4, first 2 shown]
	global_store_dwordx2 v[18:19], v[14:15], off
	global_store_dwordx2 v[6:7], v[16:17], off
	global_store_dwordx2 v[8:9], v[2:3], off
	global_store_dwordx2 v[12:13], v[10:11], off
.LBB0_2:
	s_endpgm
	.section	.rodata,"a",@progbits
	.p2align	6, 0x0
	.amdhsa_kernel bluestein_single_back_len1875_dim1_sp_op_CI_CI
		.amdhsa_group_segment_fixed_size 30000
		.amdhsa_private_segment_fixed_size 0
		.amdhsa_kernarg_size 104
		.amdhsa_user_sgpr_count 6
		.amdhsa_user_sgpr_private_segment_buffer 1
		.amdhsa_user_sgpr_dispatch_ptr 0
		.amdhsa_user_sgpr_queue_ptr 0
		.amdhsa_user_sgpr_kernarg_segment_ptr 1
		.amdhsa_user_sgpr_dispatch_id 0
		.amdhsa_user_sgpr_flat_scratch_init 0
		.amdhsa_user_sgpr_private_segment_size 0
		.amdhsa_wavefront_size32 1
		.amdhsa_uses_dynamic_stack 0
		.amdhsa_system_sgpr_private_segment_wavefront_offset 0
		.amdhsa_system_sgpr_workgroup_id_x 1
		.amdhsa_system_sgpr_workgroup_id_y 0
		.amdhsa_system_sgpr_workgroup_id_z 0
		.amdhsa_system_sgpr_workgroup_info 0
		.amdhsa_system_vgpr_workitem_id 0
		.amdhsa_next_free_vgpr 200
		.amdhsa_next_free_sgpr 20
		.amdhsa_reserve_vcc 1
		.amdhsa_reserve_flat_scratch 0
		.amdhsa_float_round_mode_32 0
		.amdhsa_float_round_mode_16_64 0
		.amdhsa_float_denorm_mode_32 3
		.amdhsa_float_denorm_mode_16_64 3
		.amdhsa_dx10_clamp 1
		.amdhsa_ieee_mode 1
		.amdhsa_fp16_overflow 0
		.amdhsa_workgroup_processor_mode 1
		.amdhsa_memory_ordered 1
		.amdhsa_forward_progress 0
		.amdhsa_shared_vgpr_count 0
		.amdhsa_exception_fp_ieee_invalid_op 0
		.amdhsa_exception_fp_denorm_src 0
		.amdhsa_exception_fp_ieee_div_zero 0
		.amdhsa_exception_fp_ieee_overflow 0
		.amdhsa_exception_fp_ieee_underflow 0
		.amdhsa_exception_fp_ieee_inexact 0
		.amdhsa_exception_int_div_zero 0
	.end_amdhsa_kernel
	.text
.Lfunc_end0:
	.size	bluestein_single_back_len1875_dim1_sp_op_CI_CI, .Lfunc_end0-bluestein_single_back_len1875_dim1_sp_op_CI_CI
                                        ; -- End function
	.section	.AMDGPU.csdata,"",@progbits
; Kernel info:
; codeLenInByte = 16884
; NumSgprs: 22
; NumVgprs: 200
; ScratchSize: 0
; MemoryBound: 0
; FloatMode: 240
; IeeeMode: 1
; LDSByteSize: 30000 bytes/workgroup (compile time only)
; SGPRBlocks: 2
; VGPRBlocks: 24
; NumSGPRsForWavesPerEU: 22
; NumVGPRsForWavesPerEU: 200
; Occupancy: 4
; WaveLimiterHint : 1
; COMPUTE_PGM_RSRC2:SCRATCH_EN: 0
; COMPUTE_PGM_RSRC2:USER_SGPR: 6
; COMPUTE_PGM_RSRC2:TRAP_HANDLER: 0
; COMPUTE_PGM_RSRC2:TGID_X_EN: 1
; COMPUTE_PGM_RSRC2:TGID_Y_EN: 0
; COMPUTE_PGM_RSRC2:TGID_Z_EN: 0
; COMPUTE_PGM_RSRC2:TIDIG_COMP_CNT: 0
	.text
	.p2alignl 6, 3214868480
	.fill 48, 4, 3214868480
	.type	__hip_cuid_2ac3f16628b1093b,@object ; @__hip_cuid_2ac3f16628b1093b
	.section	.bss,"aw",@nobits
	.globl	__hip_cuid_2ac3f16628b1093b
__hip_cuid_2ac3f16628b1093b:
	.byte	0                               ; 0x0
	.size	__hip_cuid_2ac3f16628b1093b, 1

	.ident	"AMD clang version 19.0.0git (https://github.com/RadeonOpenCompute/llvm-project roc-6.4.0 25133 c7fe45cf4b819c5991fe208aaa96edf142730f1d)"
	.section	".note.GNU-stack","",@progbits
	.addrsig
	.addrsig_sym __hip_cuid_2ac3f16628b1093b
	.amdgpu_metadata
---
amdhsa.kernels:
  - .args:
      - .actual_access:  read_only
        .address_space:  global
        .offset:         0
        .size:           8
        .value_kind:     global_buffer
      - .actual_access:  read_only
        .address_space:  global
        .offset:         8
        .size:           8
        .value_kind:     global_buffer
      - .actual_access:  read_only
        .address_space:  global
        .offset:         16
        .size:           8
        .value_kind:     global_buffer
      - .actual_access:  read_only
        .address_space:  global
        .offset:         24
        .size:           8
        .value_kind:     global_buffer
      - .actual_access:  read_only
        .address_space:  global
        .offset:         32
        .size:           8
        .value_kind:     global_buffer
      - .offset:         40
        .size:           8
        .value_kind:     by_value
      - .address_space:  global
        .offset:         48
        .size:           8
        .value_kind:     global_buffer
      - .address_space:  global
        .offset:         56
        .size:           8
        .value_kind:     global_buffer
      - .address_space:  global
        .offset:         64
        .size:           8
        .value_kind:     global_buffer
      - .address_space:  global
        .offset:         72
        .size:           8
        .value_kind:     global_buffer
      - .offset:         80
        .size:           4
        .value_kind:     by_value
      - .address_space:  global
        .offset:         88
        .size:           8
        .value_kind:     global_buffer
      - .address_space:  global
        .offset:         96
        .size:           8
        .value_kind:     global_buffer
    .group_segment_fixed_size: 30000
    .kernarg_segment_align: 8
    .kernarg_segment_size: 104
    .language:       OpenCL C
    .language_version:
      - 2
      - 0
    .max_flat_workgroup_size: 250
    .name:           bluestein_single_back_len1875_dim1_sp_op_CI_CI
    .private_segment_fixed_size: 0
    .sgpr_count:     22
    .sgpr_spill_count: 0
    .symbol:         bluestein_single_back_len1875_dim1_sp_op_CI_CI.kd
    .uniform_work_group_size: 1
    .uses_dynamic_stack: false
    .vgpr_count:     200
    .vgpr_spill_count: 0
    .wavefront_size: 32
    .workgroup_processor_mode: 1
amdhsa.target:   amdgcn-amd-amdhsa--gfx1030
amdhsa.version:
  - 1
  - 2
...

	.end_amdgpu_metadata
